;; amdgpu-corpus repo=ROCm/rocFFT kind=compiled arch=gfx1100 opt=O3
	.text
	.amdgcn_target "amdgcn-amd-amdhsa--gfx1100"
	.amdhsa_code_object_version 6
	.protected	fft_rtc_back_len1001_factors_13_7_11_wgs_182_tpt_91_halfLds_dp_op_CI_CI_sbrr_dirReg ; -- Begin function fft_rtc_back_len1001_factors_13_7_11_wgs_182_tpt_91_halfLds_dp_op_CI_CI_sbrr_dirReg
	.globl	fft_rtc_back_len1001_factors_13_7_11_wgs_182_tpt_91_halfLds_dp_op_CI_CI_sbrr_dirReg
	.p2align	8
	.type	fft_rtc_back_len1001_factors_13_7_11_wgs_182_tpt_91_halfLds_dp_op_CI_CI_sbrr_dirReg,@function
fft_rtc_back_len1001_factors_13_7_11_wgs_182_tpt_91_halfLds_dp_op_CI_CI_sbrr_dirReg: ; @fft_rtc_back_len1001_factors_13_7_11_wgs_182_tpt_91_halfLds_dp_op_CI_CI_sbrr_dirReg
; %bb.0:
	s_clause 0x2
	s_load_b128 s[16:19], s[0:1], 0x18
	s_load_b128 s[8:11], s[0:1], 0x0
	;; [unrolled: 1-line block ×3, first 2 shown]
	v_mul_u32_u24_e32 v1, 0x2d1, v0
	v_mov_b32_e32 v48, 0
	v_mov_b32_e32 v49, 0
	s_waitcnt lgkmcnt(0)
	s_load_b64 s[20:21], s[16:17], 0x0
	s_load_b64 s[12:13], s[18:19], 0x0
	v_lshrrev_b32_e32 v152, 16, v1
	v_mov_b32_e32 v1, 0
	v_cmp_lt_u64_e64 s2, s[10:11], 2
	s_delay_alu instid0(VALU_DEP_3) | instskip(NEXT) | instid1(VALU_DEP_3)
	v_lshl_add_u32 v3, s15, 1, v152
	v_mov_b32_e32 v4, v1
	s_delay_alu instid0(VALU_DEP_3)
	s_and_b32 vcc_lo, exec_lo, s2
	s_cbranch_vccnz .LBB0_8
; %bb.1:
	s_load_b64 s[2:3], s[0:1], 0x10
	v_mov_b32_e32 v48, 0
	v_mov_b32_e32 v49, 0
	s_add_u32 s14, s18, 8
	s_addc_u32 s15, s19, 0
	s_add_u32 s22, s16, 8
	s_addc_u32 s23, s17, 0
	v_dual_mov_b32 v69, v49 :: v_dual_mov_b32 v68, v48
	s_mov_b64 s[26:27], 1
	s_waitcnt lgkmcnt(0)
	s_add_u32 s24, s2, 8
	s_addc_u32 s25, s3, 0
.LBB0_2:                                ; =>This Inner Loop Header: Depth=1
	s_load_b64 s[28:29], s[24:25], 0x0
                                        ; implicit-def: $vgpr70_vgpr71
	s_mov_b32 s2, exec_lo
	s_waitcnt lgkmcnt(0)
	v_or_b32_e32 v2, s29, v4
	s_delay_alu instid0(VALU_DEP_1)
	v_cmpx_ne_u64_e32 0, v[1:2]
	s_xor_b32 s3, exec_lo, s2
	s_cbranch_execz .LBB0_4
; %bb.3:                                ;   in Loop: Header=BB0_2 Depth=1
	v_cvt_f32_u32_e32 v2, s28
	v_cvt_f32_u32_e32 v5, s29
	s_sub_u32 s2, 0, s28
	s_subb_u32 s30, 0, s29
	s_delay_alu instid0(VALU_DEP_1) | instskip(NEXT) | instid1(VALU_DEP_1)
	v_fmac_f32_e32 v2, 0x4f800000, v5
	v_rcp_f32_e32 v2, v2
	s_waitcnt_depctr 0xfff
	v_mul_f32_e32 v2, 0x5f7ffffc, v2
	s_delay_alu instid0(VALU_DEP_1) | instskip(NEXT) | instid1(VALU_DEP_1)
	v_mul_f32_e32 v5, 0x2f800000, v2
	v_trunc_f32_e32 v5, v5
	s_delay_alu instid0(VALU_DEP_1) | instskip(SKIP_1) | instid1(VALU_DEP_2)
	v_fmac_f32_e32 v2, 0xcf800000, v5
	v_cvt_u32_f32_e32 v5, v5
	v_cvt_u32_f32_e32 v2, v2
	s_delay_alu instid0(VALU_DEP_2) | instskip(NEXT) | instid1(VALU_DEP_2)
	v_mul_lo_u32 v6, s2, v5
	v_mul_hi_u32 v7, s2, v2
	v_mul_lo_u32 v8, s30, v2
	s_delay_alu instid0(VALU_DEP_2) | instskip(SKIP_1) | instid1(VALU_DEP_2)
	v_add_nc_u32_e32 v6, v7, v6
	v_mul_lo_u32 v7, s2, v2
	v_add_nc_u32_e32 v6, v6, v8
	s_delay_alu instid0(VALU_DEP_2) | instskip(NEXT) | instid1(VALU_DEP_2)
	v_mul_hi_u32 v8, v2, v7
	v_mul_lo_u32 v9, v2, v6
	v_mul_hi_u32 v10, v2, v6
	v_mul_hi_u32 v11, v5, v7
	v_mul_lo_u32 v7, v5, v7
	v_mul_hi_u32 v12, v5, v6
	v_mul_lo_u32 v6, v5, v6
	v_add_co_u32 v8, vcc_lo, v8, v9
	v_add_co_ci_u32_e32 v9, vcc_lo, 0, v10, vcc_lo
	s_delay_alu instid0(VALU_DEP_2) | instskip(NEXT) | instid1(VALU_DEP_2)
	v_add_co_u32 v7, vcc_lo, v8, v7
	v_add_co_ci_u32_e32 v7, vcc_lo, v9, v11, vcc_lo
	v_add_co_ci_u32_e32 v8, vcc_lo, 0, v12, vcc_lo
	s_delay_alu instid0(VALU_DEP_2) | instskip(NEXT) | instid1(VALU_DEP_2)
	v_add_co_u32 v6, vcc_lo, v7, v6
	v_add_co_ci_u32_e32 v7, vcc_lo, 0, v8, vcc_lo
	s_delay_alu instid0(VALU_DEP_2) | instskip(NEXT) | instid1(VALU_DEP_2)
	v_add_co_u32 v2, vcc_lo, v2, v6
	v_add_co_ci_u32_e32 v5, vcc_lo, v5, v7, vcc_lo
	s_delay_alu instid0(VALU_DEP_2) | instskip(SKIP_1) | instid1(VALU_DEP_3)
	v_mul_hi_u32 v6, s2, v2
	v_mul_lo_u32 v8, s30, v2
	v_mul_lo_u32 v7, s2, v5
	s_delay_alu instid0(VALU_DEP_1) | instskip(SKIP_1) | instid1(VALU_DEP_2)
	v_add_nc_u32_e32 v6, v6, v7
	v_mul_lo_u32 v7, s2, v2
	v_add_nc_u32_e32 v6, v6, v8
	s_delay_alu instid0(VALU_DEP_2) | instskip(NEXT) | instid1(VALU_DEP_2)
	v_mul_hi_u32 v8, v2, v7
	v_mul_lo_u32 v9, v2, v6
	v_mul_hi_u32 v10, v2, v6
	v_mul_hi_u32 v11, v5, v7
	v_mul_lo_u32 v7, v5, v7
	v_mul_hi_u32 v12, v5, v6
	v_mul_lo_u32 v6, v5, v6
	v_add_co_u32 v8, vcc_lo, v8, v9
	v_add_co_ci_u32_e32 v9, vcc_lo, 0, v10, vcc_lo
	s_delay_alu instid0(VALU_DEP_2) | instskip(NEXT) | instid1(VALU_DEP_2)
	v_add_co_u32 v7, vcc_lo, v8, v7
	v_add_co_ci_u32_e32 v7, vcc_lo, v9, v11, vcc_lo
	v_add_co_ci_u32_e32 v8, vcc_lo, 0, v12, vcc_lo
	s_delay_alu instid0(VALU_DEP_2) | instskip(NEXT) | instid1(VALU_DEP_2)
	v_add_co_u32 v6, vcc_lo, v7, v6
	v_add_co_ci_u32_e32 v7, vcc_lo, 0, v8, vcc_lo
	s_delay_alu instid0(VALU_DEP_2) | instskip(NEXT) | instid1(VALU_DEP_2)
	v_add_co_u32 v2, vcc_lo, v2, v6
	v_add_co_ci_u32_e32 v11, vcc_lo, v5, v7, vcc_lo
	s_delay_alu instid0(VALU_DEP_2) | instskip(SKIP_1) | instid1(VALU_DEP_3)
	v_mul_hi_u32 v12, v3, v2
	v_mad_u64_u32 v[7:8], null, v4, v2, 0
	v_mad_u64_u32 v[5:6], null, v3, v11, 0
	;; [unrolled: 1-line block ×3, first 2 shown]
	s_delay_alu instid0(VALU_DEP_2) | instskip(NEXT) | instid1(VALU_DEP_3)
	v_add_co_u32 v2, vcc_lo, v12, v5
	v_add_co_ci_u32_e32 v5, vcc_lo, 0, v6, vcc_lo
	s_delay_alu instid0(VALU_DEP_2) | instskip(NEXT) | instid1(VALU_DEP_2)
	v_add_co_u32 v2, vcc_lo, v2, v7
	v_add_co_ci_u32_e32 v2, vcc_lo, v5, v8, vcc_lo
	v_add_co_ci_u32_e32 v5, vcc_lo, 0, v10, vcc_lo
	s_delay_alu instid0(VALU_DEP_2) | instskip(NEXT) | instid1(VALU_DEP_2)
	v_add_co_u32 v2, vcc_lo, v2, v9
	v_add_co_ci_u32_e32 v7, vcc_lo, 0, v5, vcc_lo
	s_delay_alu instid0(VALU_DEP_2) | instskip(SKIP_1) | instid1(VALU_DEP_3)
	v_mul_lo_u32 v8, s29, v2
	v_mad_u64_u32 v[5:6], null, s28, v2, 0
	v_mul_lo_u32 v9, s28, v7
	s_delay_alu instid0(VALU_DEP_2) | instskip(NEXT) | instid1(VALU_DEP_2)
	v_sub_co_u32 v5, vcc_lo, v3, v5
	v_add3_u32 v6, v6, v9, v8
	s_delay_alu instid0(VALU_DEP_1) | instskip(NEXT) | instid1(VALU_DEP_1)
	v_sub_nc_u32_e32 v8, v4, v6
	v_subrev_co_ci_u32_e64 v8, s2, s29, v8, vcc_lo
	v_add_co_u32 v9, s2, v2, 2
	s_delay_alu instid0(VALU_DEP_1) | instskip(SKIP_3) | instid1(VALU_DEP_3)
	v_add_co_ci_u32_e64 v10, s2, 0, v7, s2
	v_sub_co_u32 v11, s2, v5, s28
	v_sub_co_ci_u32_e32 v6, vcc_lo, v4, v6, vcc_lo
	v_subrev_co_ci_u32_e64 v8, s2, 0, v8, s2
	v_cmp_le_u32_e32 vcc_lo, s28, v11
	s_delay_alu instid0(VALU_DEP_3) | instskip(SKIP_1) | instid1(VALU_DEP_4)
	v_cmp_eq_u32_e64 s2, s29, v6
	v_cndmask_b32_e64 v11, 0, -1, vcc_lo
	v_cmp_le_u32_e32 vcc_lo, s29, v8
	v_cndmask_b32_e64 v12, 0, -1, vcc_lo
	v_cmp_le_u32_e32 vcc_lo, s28, v5
	;; [unrolled: 2-line block ×3, first 2 shown]
	v_cndmask_b32_e64 v13, 0, -1, vcc_lo
	v_cmp_eq_u32_e32 vcc_lo, s29, v8
	s_delay_alu instid0(VALU_DEP_2) | instskip(SKIP_3) | instid1(VALU_DEP_3)
	v_cndmask_b32_e64 v5, v13, v5, s2
	v_cndmask_b32_e32 v8, v12, v11, vcc_lo
	v_add_co_u32 v11, vcc_lo, v2, 1
	v_add_co_ci_u32_e32 v12, vcc_lo, 0, v7, vcc_lo
	v_cmp_ne_u32_e32 vcc_lo, 0, v8
	s_delay_alu instid0(VALU_DEP_2) | instskip(NEXT) | instid1(VALU_DEP_4)
	v_cndmask_b32_e32 v6, v12, v10, vcc_lo
	v_cndmask_b32_e32 v8, v11, v9, vcc_lo
	v_cmp_ne_u32_e32 vcc_lo, 0, v5
	s_delay_alu instid0(VALU_DEP_2)
	v_dual_cndmask_b32 v71, v7, v6 :: v_dual_cndmask_b32 v70, v2, v8
.LBB0_4:                                ;   in Loop: Header=BB0_2 Depth=1
	s_and_not1_saveexec_b32 s2, s3
	s_cbranch_execz .LBB0_6
; %bb.5:                                ;   in Loop: Header=BB0_2 Depth=1
	v_cvt_f32_u32_e32 v2, s28
	s_sub_i32 s3, 0, s28
	v_mov_b32_e32 v71, v1
	s_delay_alu instid0(VALU_DEP_2) | instskip(SKIP_2) | instid1(VALU_DEP_1)
	v_rcp_iflag_f32_e32 v2, v2
	s_waitcnt_depctr 0xfff
	v_mul_f32_e32 v2, 0x4f7ffffe, v2
	v_cvt_u32_f32_e32 v2, v2
	s_delay_alu instid0(VALU_DEP_1) | instskip(NEXT) | instid1(VALU_DEP_1)
	v_mul_lo_u32 v5, s3, v2
	v_mul_hi_u32 v5, v2, v5
	s_delay_alu instid0(VALU_DEP_1) | instskip(NEXT) | instid1(VALU_DEP_1)
	v_add_nc_u32_e32 v2, v2, v5
	v_mul_hi_u32 v2, v3, v2
	s_delay_alu instid0(VALU_DEP_1) | instskip(SKIP_1) | instid1(VALU_DEP_2)
	v_mul_lo_u32 v5, v2, s28
	v_add_nc_u32_e32 v6, 1, v2
	v_sub_nc_u32_e32 v5, v3, v5
	s_delay_alu instid0(VALU_DEP_1) | instskip(SKIP_1) | instid1(VALU_DEP_2)
	v_subrev_nc_u32_e32 v7, s28, v5
	v_cmp_le_u32_e32 vcc_lo, s28, v5
	v_dual_cndmask_b32 v5, v5, v7 :: v_dual_cndmask_b32 v2, v2, v6
	s_delay_alu instid0(VALU_DEP_1) | instskip(NEXT) | instid1(VALU_DEP_2)
	v_cmp_le_u32_e32 vcc_lo, s28, v5
	v_add_nc_u32_e32 v6, 1, v2
	s_delay_alu instid0(VALU_DEP_1)
	v_cndmask_b32_e32 v70, v2, v6, vcc_lo
.LBB0_6:                                ;   in Loop: Header=BB0_2 Depth=1
	s_or_b32 exec_lo, exec_lo, s2
	s_delay_alu instid0(VALU_DEP_1) | instskip(NEXT) | instid1(VALU_DEP_2)
	v_mul_lo_u32 v2, v71, s28
	v_mul_lo_u32 v7, v70, s29
	s_load_b64 s[2:3], s[22:23], 0x0
	v_mad_u64_u32 v[5:6], null, v70, s28, 0
	s_load_b64 s[28:29], s[14:15], 0x0
	s_add_u32 s26, s26, 1
	s_addc_u32 s27, s27, 0
	s_add_u32 s14, s14, 8
	s_addc_u32 s15, s15, 0
	s_add_u32 s22, s22, 8
	s_delay_alu instid0(VALU_DEP_1) | instskip(SKIP_3) | instid1(VALU_DEP_2)
	v_add3_u32 v2, v6, v7, v2
	v_sub_co_u32 v6, vcc_lo, v3, v5
	s_addc_u32 s23, s23, 0
	s_add_u32 s24, s24, 8
	v_sub_co_ci_u32_e32 v4, vcc_lo, v4, v2, vcc_lo
	s_addc_u32 s25, s25, 0
	s_waitcnt lgkmcnt(0)
	s_delay_alu instid0(VALU_DEP_1)
	v_mul_lo_u32 v7, s2, v4
	v_mul_lo_u32 v8, s3, v6
	v_mad_u64_u32 v[2:3], null, s2, v6, v[48:49]
	v_mul_lo_u32 v9, s28, v4
	v_mul_lo_u32 v10, s29, v6
	v_mad_u64_u32 v[4:5], null, s28, v6, v[68:69]
	v_cmp_ge_u64_e64 s2, s[26:27], s[10:11]
	v_add3_u32 v49, v8, v3, v7
	v_mov_b32_e32 v48, v2
	s_delay_alu instid0(VALU_DEP_4)
	v_add3_u32 v69, v10, v5, v9
	v_mov_b32_e32 v68, v4
	s_and_b32 vcc_lo, exec_lo, s2
	s_cbranch_vccnz .LBB0_9
; %bb.7:                                ;   in Loop: Header=BB0_2 Depth=1
	v_dual_mov_b32 v3, v70 :: v_dual_mov_b32 v4, v71
	s_branch .LBB0_2
.LBB0_8:
	v_dual_mov_b32 v69, v49 :: v_dual_mov_b32 v68, v48
	s_delay_alu instid0(VALU_DEP_2)
	v_dual_mov_b32 v71, v4 :: v_dual_mov_b32 v70, v3
.LBB0_9:
	s_load_b64 s[0:1], s[0:1], 0x28
	s_lshl_b64 s[10:11], s[10:11], 3
	v_mul_hi_u32 v1, 0x2d02d03, v0
	s_add_u32 s2, s18, s10
	s_addc_u32 s3, s19, s11
	v_mov_b32_e32 v154, 0
	s_load_b64 s[2:3], s[2:3], 0x0
                                        ; implicit-def: $vgpr10_vgpr11
                                        ; implicit-def: $vgpr22_vgpr23
                                        ; implicit-def: $vgpr30_vgpr31
                                        ; implicit-def: $vgpr38_vgpr39
                                        ; implicit-def: $vgpr46_vgpr47
                                        ; implicit-def: $vgpr42_vgpr43
                                        ; implicit-def: $vgpr54_vgpr55
                                        ; implicit-def: $vgpr26_vgpr27
                                        ; implicit-def: $vgpr34_vgpr35
                                        ; implicit-def: $vgpr18_vgpr19
                                        ; implicit-def: $vgpr14_vgpr15
                                        ; implicit-def: $vgpr6_vgpr7
                                        ; implicit-def: $vgpr2_vgpr3
	s_delay_alu instid0(VALU_DEP_2) | instskip(NEXT) | instid1(VALU_DEP_1)
	v_mul_u32_u24_e32 v1, 0x5b, v1
	v_sub_nc_u32_e32 v155, v0, v1
	s_waitcnt lgkmcnt(0)
	v_cmp_gt_u64_e32 vcc_lo, s[0:1], v[70:71]
	s_and_saveexec_b32 s1, vcc_lo
	s_cbranch_execz .LBB0_13
; %bb.10:
	s_mov_b32 s14, exec_lo
                                        ; implicit-def: $vgpr0_vgpr1
                                        ; implicit-def: $vgpr4_vgpr5
                                        ; implicit-def: $vgpr12_vgpr13
                                        ; implicit-def: $vgpr16_vgpr17
                                        ; implicit-def: $vgpr32_vgpr33
                                        ; implicit-def: $vgpr24_vgpr25
                                        ; implicit-def: $vgpr52_vgpr53
                                        ; implicit-def: $vgpr40_vgpr41
                                        ; implicit-def: $vgpr44_vgpr45
                                        ; implicit-def: $vgpr36_vgpr37
                                        ; implicit-def: $vgpr28_vgpr29
                                        ; implicit-def: $vgpr20_vgpr21
                                        ; implicit-def: $vgpr8_vgpr9
	v_cmpx_gt_u32_e32 0x4d, v155
	s_cbranch_execz .LBB0_12
; %bb.11:
	s_add_u32 s10, s16, s10
	s_addc_u32 s11, s17, s11
	v_add_nc_u32_e32 v19, 0x134, v155
	s_load_b64 s[10:11], s[10:11], 0x0
	v_add_nc_u32_e32 v18, 0xe7, v155
	v_mad_u64_u32 v[0:1], null, s20, v155, 0
	s_delay_alu instid0(VALU_DEP_3) | instskip(SKIP_1) | instid1(VALU_DEP_4)
	v_mad_u64_u32 v[20:21], null, s20, v19, 0
	v_add_nc_u32_e32 v17, 0x9a, v155
	v_mad_u64_u32 v[10:11], null, s20, v18, 0
	v_lshlrev_b64 v[12:13], 4, v[48:49]
	v_add_nc_u32_e32 v31, 0x21b, v155
	s_delay_alu instid0(VALU_DEP_4) | instskip(SKIP_2) | instid1(VALU_DEP_4)
	v_mad_u64_u32 v[8:9], null, s20, v17, 0
	v_add_nc_u32_e32 v16, 0x4d, v155
	v_add_nc_u32_e32 v41, 0x302, v155
	v_mad_u64_u32 v[28:29], null, s20, v31, 0
	v_add_nc_u32_e32 v47, 0x39c, v155
	s_delay_alu instid0(VALU_DEP_4)
	v_mad_u64_u32 v[2:3], null, s20, v16, 0
	s_waitcnt lgkmcnt(0)
	v_mul_lo_u32 v14, s11, v70
	v_mul_lo_u32 v15, s10, v71
	v_mad_u64_u32 v[4:5], null, s10, v70, 0
	v_add_nc_u32_e32 v30, 0x1ce, v155
	v_add_nc_u32_e32 v36, 0x268, v155
	v_mad_u64_u32 v[6:7], null, s21, v155, v[1:2]
	v_mov_b32_e32 v7, v9
	v_mov_b32_e32 v9, v11
	v_add3_u32 v5, v5, v15, v14
	v_mad_u64_u32 v[24:25], null, s20, v30, 0
	v_dual_mov_b32 v1, v6 :: v_dual_add_nc_u32 v40, 0x2b5, v155
	s_delay_alu instid0(VALU_DEP_3) | instskip(SKIP_1) | instid1(VALU_DEP_3)
	v_lshlrev_b64 v[4:5], 4, v[4:5]
	v_add_nc_u32_e32 v46, 0x34f, v155
	v_lshlrev_b64 v[0:1], 4, v[0:1]
	s_delay_alu instid0(VALU_DEP_3) | instskip(SKIP_1) | instid1(VALU_DEP_1)
	v_mad_u64_u32 v[14:15], null, s21, v16, v[3:4]
	v_add_co_u32 v4, s0, s4, v4
	v_add_co_ci_u32_e64 v5, s0, s5, v5, s0
	s_delay_alu instid0(VALU_DEP_2)
	v_add_co_u32 v44, s0, v4, v12
	v_mad_u64_u32 v[11:12], null, s21, v18, v[9:10]
	v_mov_b32_e32 v12, v21
	v_mad_u64_u32 v[15:16], null, s21, v17, v[7:8]
	v_mov_b32_e32 v3, v14
	v_add_co_ci_u32_e64 v45, s0, v5, v13, s0
	v_add_co_u32 v0, s0, v44, v0
	s_delay_alu instid0(VALU_DEP_3) | instskip(SKIP_4) | instid1(VALU_DEP_4)
	v_lshlrev_b64 v[2:3], 4, v[2:3]
	v_mov_b32_e32 v9, v15
	v_add_nc_u32_e32 v15, 0x181, v155
	v_add_co_ci_u32_e64 v1, s0, v45, v1, s0
	v_lshlrev_b64 v[10:11], 4, v[10:11]
	v_lshlrev_b64 v[8:9], 4, v[8:9]
	s_delay_alu instid0(VALU_DEP_4) | instskip(SKIP_1) | instid1(VALU_DEP_1)
	v_mad_u64_u32 v[22:23], null, s20, v15, 0
	v_add_co_u32 v4, s0, v44, v2
	v_add_co_ci_u32_e64 v5, s0, v45, v3, s0
	s_delay_alu instid0(VALU_DEP_4)
	v_add_co_u32 v8, s0, v44, v8
	v_mad_u64_u32 v[13:14], null, s21, v19, v[12:13]
	v_add_co_ci_u32_e64 v9, s0, v45, v9, s0
	v_add_co_u32 v10, s0, v44, v10
	v_mov_b32_e32 v12, v23
	v_add_co_ci_u32_e64 v11, s0, v45, v11, s0
	s_clause 0x1
	global_load_b128 v[0:3], v[0:1], off
	global_load_b128 v[4:7], v[4:5], off
	v_mov_b32_e32 v21, v13
	v_mad_u64_u32 v[26:27], null, s21, v15, v[12:13]
	s_clause 0x1
	global_load_b128 v[12:15], v[8:9], off
	global_load_b128 v[16:19], v[10:11], off
	v_mov_b32_e32 v23, v25
	v_lshlrev_b64 v[8:9], 4, v[20:21]
	s_delay_alu instid0(VALU_DEP_2) | instskip(SKIP_2) | instid1(VALU_DEP_4)
	v_mad_u64_u32 v[10:11], null, s21, v30, v[23:24]
	v_mov_b32_e32 v23, v26
	v_mov_b32_e32 v11, v29
	v_add_co_u32 v8, s0, v44, v8
	s_delay_alu instid0(VALU_DEP_1) | instskip(NEXT) | instid1(VALU_DEP_4)
	v_add_co_ci_u32_e64 v9, s0, v45, v9, s0
	v_lshlrev_b64 v[20:21], 4, v[22:23]
	v_mov_b32_e32 v25, v10
	s_delay_alu instid0(VALU_DEP_2)
	v_add_co_u32 v10, s0, v44, v20
	s_waitcnt vmcnt(1)
	v_mad_u64_u32 v[22:23], null, s21, v31, v[11:12]
	v_mad_u64_u32 v[30:31], null, s20, v36, 0
	v_add_co_ci_u32_e64 v11, s0, v45, v21, s0
	v_lshlrev_b64 v[20:21], 4, v[24:25]
	s_clause 0x1
	global_load_b128 v[32:35], v[8:9], off
	global_load_b128 v[24:27], v[10:11], off
	v_dual_mov_b32 v29, v22 :: v_dual_mov_b32 v10, v31
	v_add_co_u32 v8, s0, v44, v20
	s_delay_alu instid0(VALU_DEP_1) | instskip(NEXT) | instid1(VALU_DEP_3)
	v_add_co_ci_u32_e64 v9, s0, v45, v21, s0
	v_mad_u64_u32 v[22:23], null, s21, v36, v[10:11]
	v_mad_u64_u32 v[10:11], null, s20, v40, 0
	v_lshlrev_b64 v[20:21], 4, v[28:29]
	v_mad_u64_u32 v[28:29], null, s20, v41, 0
	v_mad_u64_u32 v[36:37], null, s20, v46, 0
	v_mov_b32_e32 v31, v22
	v_mad_u64_u32 v[38:39], null, s21, v40, v[11:12]
	v_add_co_u32 v20, s0, v44, v20
	v_mov_b32_e32 v22, v29
	v_add_co_ci_u32_e64 v21, s0, v45, v21, s0
	s_delay_alu instid0(VALU_DEP_4) | instskip(NEXT) | instid1(VALU_DEP_3)
	v_mov_b32_e32 v11, v38
	v_mad_u64_u32 v[39:40], null, s21, v41, v[22:23]
	v_mad_u64_u32 v[22:23], null, s20, v47, 0
	s_clause 0x1
	global_load_b128 v[52:55], v[8:9], off
	global_load_b128 v[40:43], v[20:21], off
	v_mov_b32_e32 v8, v37
	v_lshlrev_b64 v[20:21], 4, v[30:31]
	v_mov_b32_e32 v29, v39
	s_delay_alu instid0(VALU_DEP_3) | instskip(SKIP_3) | instid1(VALU_DEP_1)
	v_mad_u64_u32 v[30:31], null, s21, v46, v[8:9]
	v_mov_b32_e32 v8, v23
	v_lshlrev_b64 v[9:10], 4, v[10:11]
	v_add_co_u32 v20, s0, v44, v20
	v_add_co_ci_u32_e64 v21, s0, v45, v21, s0
	v_mov_b32_e32 v37, v30
	s_delay_alu instid0(VALU_DEP_4) | instskip(SKIP_2) | instid1(VALU_DEP_1)
	v_mad_u64_u32 v[38:39], null, s21, v47, v[8:9]
	v_lshlrev_b64 v[28:29], 4, v[28:29]
	v_add_co_u32 v8, s0, v44, v9
	v_add_co_ci_u32_e64 v9, s0, v45, v10, s0
	v_lshlrev_b64 v[10:11], 4, v[36:37]
	v_mov_b32_e32 v23, v38
	v_add_co_u32 v28, s0, v44, v28
	s_delay_alu instid0(VALU_DEP_1) | instskip(NEXT) | instid1(VALU_DEP_3)
	v_add_co_ci_u32_e64 v29, s0, v45, v29, s0
	v_lshlrev_b64 v[22:23], 4, v[22:23]
	v_add_co_u32 v10, s0, v44, v10
	s_delay_alu instid0(VALU_DEP_1) | instskip(NEXT) | instid1(VALU_DEP_3)
	v_add_co_ci_u32_e64 v11, s0, v45, v11, s0
	v_add_co_u32 v48, s0, v44, v22
	s_delay_alu instid0(VALU_DEP_1)
	v_add_co_ci_u32_e64 v49, s0, v45, v23, s0
	s_clause 0x4
	global_load_b128 v[44:47], v[20:21], off
	global_load_b128 v[36:39], v[8:9], off
	;; [unrolled: 1-line block ×5, first 2 shown]
.LBB0_12:
	s_or_b32 exec_lo, exec_lo, s14
	v_mov_b32_e32 v154, v155
.LBB0_13:
	s_or_b32 exec_lo, exec_lo, s1
	s_waitcnt vmcnt(0)
	v_add_f64 v[48:49], v[6:7], -v[10:11]
	s_mov_b32 s28, 0x42a4c3d2
	s_mov_b32 s30, 0x66966769
	;; [unrolled: 1-line block ×12, first 2 shown]
	v_add_f64 v[56:57], v[8:9], v[4:5]
	v_add_f64 v[50:51], v[14:15], -v[22:23]
	s_mov_b32 s14, 0xe00740e9
	s_mov_b32 s4, 0x1ea71119
	;; [unrolled: 1-line block ×16, first 2 shown]
	v_add_f64 v[88:89], v[20:21], v[12:13]
	s_mov_b32 s39, 0x3fedeba7
	s_mov_b32 s38, s22
	v_add_f64 v[100:101], v[28:29], v[16:17]
	v_add_f64 v[118:119], v[34:35], -v[38:39]
	s_mov_b32 s41, 0x3fea55e2
	s_mov_b32 s40, s28
	v_mul_f64 v[58:59], v[48:49], s[28:29]
	v_mul_f64 v[60:61], v[48:49], s[30:31]
	;; [unrolled: 1-line block ×6, first 2 shown]
	s_mov_b32 s1, 0x3fddbe06
	v_add_f64 v[48:49], v[18:19], -v[30:31]
	v_add_f64 v[138:139], v[26:27], -v[46:47]
	;; [unrolled: 1-line block ×3, first 2 shown]
	v_and_b32_e32 v152, 1, v152
	v_mul_f64 v[82:83], v[50:51], s[28:29]
	v_mul_f64 v[84:85], v[50:51], s[22:23]
	;; [unrolled: 1-line block ×9, first 2 shown]
	v_fma_f64 v[50:51], v[56:57], s[4:5], -v[58:59]
	v_fma_f64 v[72:73], v[56:57], s[10:11], -v[60:61]
	;; [unrolled: 1-line block ×6, first 2 shown]
	v_mul_f64 v[122:123], v[118:119], s[40:41]
	v_mul_f64 v[96:97], v[48:49], s[30:31]
	;; [unrolled: 1-line block ×7, first 2 shown]
	s_mov_b32 s39, 0x3fcea1e5
	v_fma_f64 v[48:49], v[88:89], s[4:5], -v[82:83]
	v_fma_f64 v[124:125], v[88:89], s[16:17], -v[84:85]
	v_fma_f64 v[126:127], v[88:89], s[20:21], -v[86:87]
	v_fma_f64 v[128:129], v[88:89], s[18:19], -v[90:91]
	v_fma_f64 v[130:131], v[88:89], s[10:11], -v[92:93]
	v_fma_f64 v[132:133], v[88:89], s[14:15], -v[94:95]
	s_mov_b32 s38, s24
	v_mul_f64 v[136:137], v[138:139], s[22:23]
	v_mul_f64 v[120:121], v[118:119], s[38:39]
	;; [unrolled: 1-line block ×3, first 2 shown]
	v_add_f64 v[50:51], v[0:1], v[50:51]
	v_add_f64 v[72:73], v[0:1], v[72:73]
	;; [unrolled: 1-line block ×7, first 2 shown]
	v_fma_f64 v[140:141], v[100:101], s[10:11], -v[96:97]
	v_fma_f64 v[142:143], v[100:101], s[20:21], -v[98:99]
	;; [unrolled: 1-line block ×6, first 2 shown]
	v_add_f64 v[50:51], v[124:125], v[50:51]
	v_add_f64 v[72:73], v[126:127], v[72:73]
	;; [unrolled: 1-line block ×7, first 2 shown]
	v_mul_f64 v[124:125], v[138:139], s[26:27]
	v_mul_f64 v[126:127], v[138:139], s[34:35]
	;; [unrolled: 1-line block ×5, first 2 shown]
	v_fma_f64 v[158:159], v[110:111], s[16:17], -v[112:113]
	v_fma_f64 v[160:161], v[110:111], s[18:19], -v[114:115]
	;; [unrolled: 1-line block ×6, first 2 shown]
	v_mul_f64 v[138:139], v[156:157], s[26:27]
	v_add_f64 v[50:51], v[142:143], v[50:51]
	v_add_f64 v[72:73], v[144:145], v[72:73]
	;; [unrolled: 1-line block ×7, first 2 shown]
	v_mul_f64 v[140:141], v[156:157], s[40:41]
	v_mul_f64 v[142:143], v[156:157], s[22:23]
	;; [unrolled: 1-line block ×5, first 2 shown]
	v_fma_f64 v[156:157], v[130:131], s[18:19], -v[124:125]
	v_fma_f64 v[170:171], v[130:131], s[10:11], -v[126:127]
	;; [unrolled: 1-line block ×6, first 2 shown]
	v_cmp_eq_u32_e64 s0, 1, v152
	v_cmp_gt_u32_e64 s1, 0x4d, v155
	s_delay_alu instid0(VALU_DEP_2)
	v_cndmask_b32_e64 v152, 0, 0x3e9, s0
	v_add_f64 v[50:51], v[160:161], v[50:51]
	v_add_f64 v[72:73], v[168:169], v[72:73]
	;; [unrolled: 1-line block ×6, first 2 shown]
	v_fma_f64 v[158:159], v[144:145], s[18:19], -v[138:139]
	v_fma_f64 v[160:161], v[144:145], s[4:5], -v[140:141]
	;; [unrolled: 1-line block ×6, first 2 shown]
	v_add_f64 v[50:51], v[170:171], v[50:51]
	v_add_f64 v[170:171], v[172:173], v[72:73]
	;; [unrolled: 1-line block ×12, first 2 shown]
	v_lshlrev_b32_e32 v156, 3, v152
	s_and_saveexec_b32 s0, s1
	s_cbranch_execz .LBB0_15
; %bb.14:
	v_add_f64 v[152:153], v[4:5], v[0:1]
	v_mul_f64 v[159:160], v[56:57], s[18:19]
	v_mul_f64 v[161:162], v[56:57], s[16:17]
	;; [unrolled: 1-line block ×12, first 2 shown]
	v_add_f64 v[152:153], v[12:13], v[152:153]
	v_add_f64 v[64:65], v[64:65], v[159:160]
	v_add_f64 v[62:63], v[62:63], v[161:162]
	v_add_f64 v[80:81], v[80:81], v[157:158]
	v_add_f64 v[66:67], v[66:67], v[165:166]
	v_add_f64 v[60:61], v[60:61], v[163:164]
	v_add_f64 v[56:57], v[58:59], v[56:57]
	v_mul_f64 v[159:160], v[100:101], s[4:5]
	v_mul_f64 v[161:162], v[100:101], s[14:15]
	v_add_f64 v[92:93], v[92:93], v[169:170]
	v_add_f64 v[90:91], v[90:91], v[171:172]
	v_mul_f64 v[157:158], v[100:101], s[18:19]
	v_add_f64 v[94:95], v[94:95], v[167:168]
	v_mul_f64 v[58:59], v[100:101], s[10:11]
	;; [unrolled: 2-line block ×3, first 2 shown]
	v_mul_f64 v[100:101], v[100:101], s[16:17]
	v_add_f64 v[86:87], v[86:87], v[173:174]
	v_add_f64 v[84:85], v[84:85], v[175:176]
	v_mul_f64 v[165:166], v[110:111], s[14:15]
	v_mul_f64 v[167:168], v[110:111], s[4:5]
	;; [unrolled: 1-line block ×3, first 2 shown]
	v_add_f64 v[152:153], v[16:17], v[152:153]
	v_add_f64 v[64:65], v[0:1], v[64:65]
	;; [unrolled: 1-line block ×7, first 2 shown]
	v_mul_f64 v[56:57], v[110:111], s[16:17]
	v_add_f64 v[104:105], v[104:105], v[159:160]
	v_add_f64 v[106:107], v[106:107], v[161:162]
	;; [unrolled: 1-line block ×15, first 2 shown]
	v_mul_f64 v[90:91], v[130:131], s[20:21]
	v_mul_f64 v[92:93], v[130:131], s[14:15]
	;; [unrolled: 1-line block ×4, first 2 shown]
	v_add_f64 v[56:57], v[112:113], v[56:57]
	v_mul_f64 v[86:87], v[130:131], s[10:11]
	v_add_f64 v[152:153], v[24:25], v[152:153]
	v_add_f64 v[64:65], v[104:105], v[64:65]
	;; [unrolled: 1-line block ×7, first 2 shown]
	v_mul_f64 v[104:105], v[144:145], s[4:5]
	v_mul_f64 v[106:107], v[144:145], s[16:17]
	v_add_f64 v[92:93], v[134:135], v[92:93]
	v_add_f64 v[90:91], v[132:133], v[90:91]
	v_mul_f64 v[108:109], v[144:145], s[10:11]
	v_add_f64 v[94:95], v[136:137], v[94:95]
	v_add_f64 v[84:85], v[124:125], v[84:85]
	v_mul_f64 v[98:99], v[144:145], s[14:15]
	v_mul_f64 v[100:101], v[144:145], s[18:19]
	v_add_f64 v[86:87], v[126:127], v[86:87]
	v_add_f64 v[152:153], v[52:53], v[152:153]
	;; [unrolled: 1-line block ×10, first 2 shown]
	v_mul_f64 v[152:153], v[110:111], s[18:19]
	v_mul_f64 v[110:111], v[110:111], s[10:11]
	v_add_f64 v[64:65], v[92:93], v[64:65]
	v_add_f64 v[80:81], v[94:95], v[80:81]
	v_add_f64 v[56:57], v[84:85], v[56:57]
	v_add_f64 v[82:83], v[44:45], v[88:89]
	v_mul_f64 v[88:89], v[130:131], s[4:5]
	v_add_f64 v[110:111], v[116:117], v[110:111]
	v_add_f64 v[116:117], v[118:119], v[165:166]
	;; [unrolled: 1-line block ×5, first 2 shown]
	v_mul_f64 v[82:83], v[144:145], s[20:21]
	v_add_f64 v[62:63], v[110:111], v[62:63]
	v_add_f64 v[88:89], v[128:129], v[88:89]
	;; [unrolled: 1-line block ×16, first 2 shown]
	v_mul_u32_u24_e32 v80, 0x68, v155
	s_delay_alu instid0(VALU_DEP_1)
	v_add3_u32 v80, 0, v80, v156
	v_add_f64 v[58:59], v[8:9], v[58:59]
	ds_store_2addr_b64 v80, v[78:79], v[76:77] offset0:8 offset1:9
	ds_store_2addr_b64 v80, v[74:75], v[72:73] offset0:10 offset1:11
	ds_store_2addr_b64 v80, v[62:63], v[64:65] offset0:4 offset1:5
	ds_store_2addr_b64 v80, v[66:67], v[48:49] offset0:6 offset1:7
	ds_store_2addr_b64 v80, v[58:59], v[56:57] offset1:1
	ds_store_2addr_b64 v80, v[0:1], v[60:61] offset0:2 offset1:3
	ds_store_b64 v80, v[50:51] offset:96
.LBB0_15:
	s_or_b32 exec_lo, exec_lo, s0
	v_lshlrev_b32_e32 v0, 3, v155
	s_waitcnt lgkmcnt(0)
	s_barrier
	buffer_gl0_inv
	v_cmp_gt_u32_e64 s0, 52, v155
	v_add_nc_u32_e32 v159, 0, v0
	v_add3_u32 v157, 0, v156, v0
	s_delay_alu instid0(VALU_DEP_2) | instskip(NEXT) | instid1(VALU_DEP_1)
	v_add_nc_u32_e32 v158, v159, v156
	v_add_nc_u32_e32 v0, 0x400, v158
	;; [unrolled: 1-line block ×4, first 2 shown]
	ds_load_b64 v[80:81], v157
	ds_load_2addr_b64 v[60:63], v0 offset0:15 offset1:158
	ds_load_2addr_b64 v[56:59], v1 offset0:45 offset1:188
	;; [unrolled: 1-line block ×3, first 2 shown]
                                        ; implicit-def: $vgpr0_vgpr1
	s_and_saveexec_b32 s4, s0
	s_cbranch_execz .LBB0_17
; %bb.16:
	v_add_nc_u32_e32 v0, 0xa00, v158
	ds_load_2addr_b64 v[48:51], v82 offset0:23 offset1:166
	ds_load_2addr_b64 v[82:85], v158 offset0:91 offset1:234
	;; [unrolled: 1-line block ×3, first 2 shown]
	ds_load_b64 v[0:1], v158 offset:7592
	s_waitcnt lgkmcnt(3)
	v_dual_mov_b32 v73, v49 :: v_dual_mov_b32 v72, v48
	s_waitcnt lgkmcnt(2)
	v_mov_b32_e32 v78, v84
	s_waitcnt lgkmcnt(1)
	v_mov_b32_e32 v74, v88
	v_mov_b32_e32 v76, v86
	v_dual_mov_b32 v48, v82 :: v_dual_mov_b32 v49, v83
	v_mov_b32_e32 v79, v85
	v_mov_b32_e32 v75, v89
	;; [unrolled: 1-line block ×3, first 2 shown]
.LBB0_17:
	s_or_b32 exec_lo, exec_lo, s4
	v_add_f64 v[4:5], v[4:5], -v[8:9]
	s_mov_b32 s24, 0x42a4c3d2
	s_mov_b32 s34, 0x66966769
	;; [unrolled: 1-line block ×12, first 2 shown]
	v_add_f64 v[8:9], v[10:11], v[6:7]
	v_add_f64 v[20:21], v[12:13], -v[20:21]
	s_mov_b32 s10, 0x1ea71119
	s_mov_b32 s4, 0xebaa3ed8
	;; [unrolled: 1-line block ×8, first 2 shown]
	v_add_f64 v[92:93], v[22:23], v[14:15]
	s_mov_b32 s41, 0x3fedeba7
	s_mov_b32 s40, s26
	v_add_f64 v[116:117], v[30:31], v[18:19]
	v_add_f64 v[32:33], v[32:33], -v[36:37]
	s_mov_b32 s43, 0x3fea55e2
	s_mov_b32 s42, s24
	v_add_f64 v[24:25], v[24:25], -v[44:45]
	v_add_f64 v[148:149], v[46:47], v[26:27]
	v_add_f64 v[164:165], v[52:53], -v[40:41]
	s_waitcnt lgkmcnt(0)
	s_barrier
	buffer_gl0_inv
	v_mul_f64 v[90:91], v[4:5], s[22:23]
	v_mul_f64 v[88:89], v[4:5], s[24:25]
	v_mul_f64 v[12:13], v[4:5], s[34:35]
	v_mul_f64 v[86:87], v[4:5], s[26:27]
	v_mul_f64 v[84:85], v[4:5], s[28:29]
	v_mul_f64 v[82:83], v[4:5], s[30:31]
	s_mov_b32 s23, 0x3fddbe06
	v_add_f64 v[4:5], v[16:17], -v[28:29]
	v_mul_f64 v[102:103], v[20:21], s[24:25]
	v_mul_f64 v[100:101], v[20:21], s[26:27]
	;; [unrolled: 1-line block ×11, first 2 shown]
	v_fma_f64 v[20:21], v[8:9], s[14:15], v[90:91]
	v_fma_f64 v[28:29], v[8:9], s[10:11], v[88:89]
	v_fma_f64 v[118:119], v[8:9], s[4:5], v[12:13]
	v_fma_f64 v[120:121], v[8:9], s[16:17], v[86:87]
	v_fma_f64 v[122:123], v[8:9], s[18:19], v[84:85]
	v_fma_f64 v[124:125], v[8:9], s[20:21], v[82:83]
	v_mul_f64 v[114:115], v[4:5], s[34:35]
	v_mul_f64 v[110:111], v[4:5], s[30:31]
	v_mul_f64 v[108:109], v[4:5], s[40:41]
	v_mul_f64 v[106:107], v[4:5], s[24:25]
	v_mul_f64 v[104:105], v[4:5], s[28:29]
	v_mul_f64 v[112:113], v[4:5], s[22:23]
	s_mov_b32 s41, 0x3fcea1e5
	v_fma_f64 v[4:5], v[92:93], s[10:11], v[102:103]
	v_fma_f64 v[36:37], v[92:93], s[16:17], v[100:101]
	;; [unrolled: 1-line block ×6, first 2 shown]
	s_mov_b32 s40, s30
	v_fma_f64 v[180:181], v[148:149], s[16:17], v[40:41]
	v_add_f64 v[20:21], v[2:3], v[20:21]
	v_add_f64 v[28:29], v[2:3], v[28:29]
	v_add_f64 v[138:139], v[2:3], v[118:119]
	v_add_f64 v[140:141], v[2:3], v[120:121]
	v_add_f64 v[142:143], v[2:3], v[122:123]
	v_add_f64 v[144:145], v[2:3], v[124:125]
	v_add_f64 v[122:123], v[38:39], v[34:35]
	v_mul_f64 v[124:125], v[32:33], s[38:39]
	v_mul_f64 v[120:121], v[32:33], s[34:35]
	v_mul_f64 v[118:119], v[32:33], s[40:41]
	v_fma_f64 v[32:33], v[116:117], s[4:5], v[114:115]
	v_fma_f64 v[146:147], v[116:117], s[20:21], v[110:111]
	;; [unrolled: 1-line block ×6, first 2 shown]
	v_add_f64 v[4:5], v[4:5], v[20:21]
	v_add_f64 v[20:21], v[36:37], v[28:29]
	;; [unrolled: 1-line block ×6, first 2 shown]
	v_mul_f64 v[144:145], v[24:25], s[28:29]
	v_mul_f64 v[142:143], v[24:25], s[36:37]
	;; [unrolled: 1-line block ×5, first 2 shown]
	v_fma_f64 v[24:25], v[122:123], s[16:17], v[126:127]
	v_fma_f64 v[166:167], v[122:123], s[18:19], v[124:125]
	;; [unrolled: 1-line block ×6, first 2 shown]
	v_mul_f64 v[140:141], v[164:165], s[28:29]
	v_add_f64 v[4:5], v[32:33], v[4:5]
	v_add_f64 v[20:21], v[146:147], v[20:21]
	;; [unrolled: 1-line block ×7, first 2 shown]
	v_mul_f64 v[146:147], v[164:165], s[30:31]
	v_mul_f64 v[136:137], v[164:165], s[42:43]
	;; [unrolled: 1-line block ×4, first 2 shown]
	v_fma_f64 v[162:163], v[148:149], s[18:19], v[144:145]
	v_fma_f64 v[164:165], v[148:149], s[4:5], v[142:143]
	;; [unrolled: 1-line block ×5, first 2 shown]
	v_add_f64 v[4:5], v[24:25], v[4:5]
	v_add_f64 v[20:21], v[166:167], v[20:21]
	v_add_f64 v[24:25], v[174:175], v[28:29]
	v_add_f64 v[28:29], v[168:169], v[32:33]
	v_add_f64 v[32:33], v[170:171], v[36:37]
	v_add_f64 v[36:37], v[172:173], v[160:161]
	v_fma_f64 v[166:167], v[152:153], s[18:19], v[140:141]
	v_fma_f64 v[160:161], v[152:153], s[20:21], v[146:147]
	;; [unrolled: 1-line block ×6, first 2 shown]
	v_add_f64 v[4:5], v[162:163], v[4:5]
	v_add_f64 v[20:21], v[164:165], v[20:21]
	;; [unrolled: 1-line block ×12, first 2 shown]
	s_and_saveexec_b32 s22, s1
	s_cbranch_execz .LBB0_19
; %bb.18:
	v_add_f64 v[6:7], v[6:7], v[2:3]
	v_mul_f64 v[160:161], v[8:9], s[18:19]
	v_mul_f64 v[162:163], v[8:9], s[20:21]
	;; [unrolled: 1-line block ×6, first 2 shown]
	v_add_f64 v[6:7], v[14:15], v[6:7]
	v_mul_f64 v[14:15], v[8:9], s[14:15]
	v_add_f64 v[84:85], v[160:161], -v[84:85]
	v_add_f64 v[82:83], v[162:163], -v[82:83]
	;; [unrolled: 1-line block ×6, first 2 shown]
	v_mul_f64 v[160:161], v[122:123], s[20:21]
	v_add_f64 v[6:7], v[18:19], v[6:7]
	v_mul_f64 v[18:19], v[8:9], s[10:11]
	v_add_f64 v[14:15], v[14:15], -v[90:91]
	v_mul_f64 v[90:91], v[116:117], s[10:11]
	v_add_f64 v[84:85], v[2:3], v[84:85]
	v_add_f64 v[82:83], v[2:3], v[82:83]
	;; [unrolled: 1-line block ×3, first 2 shown]
	v_mul_f64 v[34:35], v[8:9], s[16:17]
	v_mul_f64 v[8:9], v[8:9], s[4:5]
	v_add_f64 v[18:19], v[18:19], -v[88:89]
	v_mul_f64 v[88:89], v[116:117], s[14:15]
	v_add_f64 v[14:15], v[2:3], v[14:15]
	v_add_f64 v[90:91], v[90:91], -v[106:107]
	v_add_f64 v[6:7], v[26:27], v[6:7]
	v_mul_f64 v[26:27], v[92:93], s[10:11]
	v_add_f64 v[34:35], v[34:35], -v[86:87]
	v_mul_f64 v[92:93], v[92:93], s[14:15]
	v_add_f64 v[8:9], v[8:9], -v[12:13]
	v_mul_f64 v[12:13], v[116:117], s[4:5]
	v_add_f64 v[18:19], v[2:3], v[18:19]
	v_mul_f64 v[86:87], v[116:117], s[16:17]
	v_add_f64 v[88:89], v[88:89], -v[112:113]
	v_add_f64 v[6:7], v[54:55], v[6:7]
	v_mul_f64 v[54:55], v[116:117], s[20:21]
	v_add_f64 v[26:27], v[26:27], -v[102:103]
	;; [unrolled: 3-line block ×3, first 2 shown]
	v_add_f64 v[2:3], v[2:3], v[8:9]
	v_mul_f64 v[8:9], v[122:123], s[16:17]
	v_mul_f64 v[102:103], v[122:123], s[4:5]
	v_add_f64 v[12:13], v[12:13], -v[114:115]
	v_add_f64 v[18:19], v[100:101], v[18:19]
	v_mul_f64 v[92:93], v[122:123], s[14:15]
	v_add_f64 v[86:87], v[86:87], -v[108:109]
	v_add_f64 v[6:7], v[42:43], v[6:7]
	;; [unrolled: 3-line block ×3, first 2 shown]
	v_add_f64 v[26:27], v[94:95], v[34:35]
	v_add_f64 v[34:35], v[96:97], v[84:85]
	v_mul_f64 v[122:123], v[122:123], s[10:11]
	v_add_f64 v[104:105], v[116:117], -v[104:105]
	v_add_f64 v[16:17], v[16:17], v[82:83]
	v_add_f64 v[2:3], v[98:99], v[2:3]
	v_mul_f64 v[94:95], v[148:149], s[20:21]
	v_mul_f64 v[96:97], v[148:149], s[14:15]
	v_add_f64 v[8:9], v[8:9], -v[126:127]
	v_add_f64 v[100:101], v[102:103], -v[120:121]
	;; [unrolled: 1-line block ×3, first 2 shown]
	v_mul_f64 v[98:99], v[148:149], s[16:17]
	v_mul_f64 v[82:83], v[148:149], s[4:5]
	;; [unrolled: 1-line block ×3, first 2 shown]
	v_add_f64 v[92:93], v[92:93], -v[128:129]
	v_add_f64 v[6:7], v[46:47], v[6:7]
	v_add_f64 v[42:43], v[42:43], -v[124:125]
	v_mul_f64 v[46:47], v[148:149], s[18:19]
	v_add_f64 v[12:13], v[12:13], v[14:15]
	v_add_f64 v[14:15], v[54:55], v[18:19]
	;; [unrolled: 1-line block ×4, first 2 shown]
	v_add_f64 v[44:45], v[122:123], -v[44:45]
	v_add_f64 v[16:17], v[104:105], v[16:17]
	v_add_f64 v[2:3], v[86:87], v[2:3]
	v_mul_f64 v[86:87], v[152:153], s[10:11]
	v_mul_f64 v[88:89], v[152:153], s[16:17]
	v_add_f64 v[94:95], v[94:95], -v[132:133]
	v_add_f64 v[96:97], v[96:97], -v[134:135]
	v_mul_f64 v[90:91], v[152:153], s[4:5]
	v_add_f64 v[40:41], v[98:99], -v[40:41]
	v_mul_f64 v[34:35], v[152:153], s[20:21]
	v_mul_f64 v[54:55], v[152:153], s[18:19]
	v_add_f64 v[82:83], v[82:83], -v[142:143]
	v_add_f64 v[84:85], v[84:85], -v[138:139]
	v_add_f64 v[6:7], v[38:39], v[6:7]
	v_mul_f64 v[38:39], v[152:153], s[14:15]
	v_add_f64 v[46:47], v[46:47], -v[144:145]
	v_add_f64 v[8:9], v[8:9], v[12:13]
	v_add_f64 v[12:13], v[42:43], v[14:15]
	;; [unrolled: 1-line block ×6, first 2 shown]
	v_add_f64 v[42:43], v[88:89], -v[130:131]
	v_add_f64 v[44:45], v[90:91], -v[52:53]
	;; [unrolled: 1-line block ×4, first 2 shown]
	v_add_f64 v[6:7], v[30:31], v[6:7]
	v_add_f64 v[30:31], v[38:39], -v[150:151]
	v_add_f64 v[38:39], v[86:87], -v[136:137]
	v_add_f64 v[8:9], v[46:47], v[8:9]
	v_add_f64 v[12:13], v[82:83], v[12:13]
	;; [unrolled: 1-line block ×14, first 2 shown]
	v_mul_u32_u24_e32 v10, 0x60, v155
	s_delay_alu instid0(VALU_DEP_1)
	v_add3_u32 v10, v159, v10, v156
	ds_store_2addr_b64 v10, v[36:37], v[32:33] offset0:8 offset1:9
	ds_store_2addr_b64 v10, v[28:29], v[24:25] offset0:10 offset1:11
	;; [unrolled: 1-line block ×4, first 2 shown]
	ds_store_2addr_b64 v10, v[6:7], v[8:9] offset1:1
	ds_store_2addr_b64 v10, v[12:13], v[2:3] offset0:2 offset1:3
	ds_store_b64 v10, v[4:5] offset:96
.LBB0_19:
	s_or_b32 exec_lo, exec_lo, s22
	v_add_nc_u32_e32 v3, 0x400, v158
	v_add_nc_u32_e32 v10, 0xc00, v158
	;; [unrolled: 1-line block ×3, first 2 shown]
	s_waitcnt lgkmcnt(0)
	s_barrier
	buffer_gl0_inv
	ds_load_b64 v[18:19], v157
	ds_load_2addr_b64 v[6:9], v3 offset0:15 offset1:158
	ds_load_2addr_b64 v[14:17], v10 offset0:45 offset1:188
	;; [unrolled: 1-line block ×3, first 2 shown]
                                        ; implicit-def: $vgpr22_vgpr23
	s_and_saveexec_b32 s1, s0
	s_cbranch_execz .LBB0_21
; %bb.20:
	v_add_nc_u32_e32 v20, 0xa00, v158
	ds_load_2addr_b64 v[2:5], v2 offset0:23 offset1:166
	ds_load_2addr_b64 v[28:31], v158 offset0:91 offset1:234
	;; [unrolled: 1-line block ×3, first 2 shown]
	ds_load_b64 v[22:23], v158 offset:7592
	s_waitcnt lgkmcnt(2)
	v_dual_mov_b32 v25, v3 :: v_dual_mov_b32 v20, v28
	v_dual_mov_b32 v24, v2 :: v_dual_mov_b32 v21, v29
	s_waitcnt lgkmcnt(1)
	v_dual_mov_b32 v28, v34 :: v_dual_mov_b32 v37, v31
	v_dual_mov_b32 v29, v35 :: v_dual_mov_b32 v36, v30
.LBB0_21:
	s_or_b32 exec_lo, exec_lo, s1
	v_and_b32_e32 v2, 0xff, v155
	s_mov_b32 s4, 0x37e14327
	s_mov_b32 s14, 0xe976ee23
	;; [unrolled: 1-line block ×4, first 2 shown]
	v_mul_lo_u16 v2, 0x4f, v2
	s_mov_b32 s10, 0x429ad128
	s_mov_b32 s16, 0x36b3c0b5
	;; [unrolled: 1-line block ×4, first 2 shown]
	v_lshrrev_b16 v122, 10, v2
	s_mov_b32 s18, 0xaaaaaaaa
	s_mov_b32 s24, 0xb247c609
	;; [unrolled: 1-line block ×4, first 2 shown]
	v_mul_lo_u16 v2, v122, 13
	s_mov_b32 s25, 0xbfd5d0dc
	s_mov_b32 s21, 0x3fe77f67
	;; [unrolled: 1-line block ×4, first 2 shown]
	v_sub_nc_u16 v2, v155, v2
	s_mov_b32 s22, s20
	s_mov_b32 s26, s24
	;; [unrolled: 1-line block ×4, first 2 shown]
	v_and_b32_e32 v123, 0xff, v2
	s_delay_alu instid0(VALU_DEP_1) | instskip(NEXT) | instid1(VALU_DEP_1)
	v_mul_u32_u24_e32 v2, 6, v123
	v_lshlrev_b32_e32 v2, 4, v2
	s_clause 0x5
	global_load_b128 v[42:45], v2, s[8:9]
	global_load_b128 v[38:41], v2, s[8:9] offset:16
	global_load_b128 v[52:55], v2, s[8:9] offset:80
	;; [unrolled: 1-line block ×5, first 2 shown]
	v_add_nc_u16 v2, v155, 0x5b
	s_delay_alu instid0(VALU_DEP_1) | instskip(NEXT) | instid1(VALU_DEP_1)
	v_and_b32_e32 v3, 0xff, v2
	v_mul_lo_u16 v3, 0x4f, v3
	s_delay_alu instid0(VALU_DEP_1) | instskip(NEXT) | instid1(VALU_DEP_1)
	v_lshrrev_b16 v124, 10, v3
	v_mul_lo_u16 v3, v124, 13
	s_delay_alu instid0(VALU_DEP_1) | instskip(NEXT) | instid1(VALU_DEP_1)
	v_sub_nc_u16 v2, v2, v3
	v_and_b32_e32 v125, 0xff, v2
	s_delay_alu instid0(VALU_DEP_1) | instskip(NEXT) | instid1(VALU_DEP_1)
	v_mul_u32_u24_e32 v2, 6, v125
	v_lshlrev_b32_e32 v2, 4, v2
	s_clause 0x5
	global_load_b128 v[94:97], v2, s[8:9]
	global_load_b128 v[98:101], v2, s[8:9] offset:16
	global_load_b128 v[102:105], v2, s[8:9] offset:32
	;; [unrolled: 1-line block ×5, first 2 shown]
	s_waitcnt vmcnt(0) lgkmcnt(0)
	s_barrier
	buffer_gl0_inv
	v_mul_f64 v[2:3], v[6:7], v[44:45]
	v_mul_f64 v[26:27], v[8:9], v[40:41]
	;; [unrolled: 1-line block ×12, first 2 shown]
	v_fma_f64 v[2:3], v[60:61], v[42:43], v[2:3]
	v_fma_f64 v[30:31], v[62:63], v[38:39], v[26:27]
	;; [unrolled: 1-line block ×4, first 2 shown]
	v_fma_f64 v[6:7], v[6:7], v[42:43], -v[44:45]
	v_fma_f64 v[38:39], v[8:9], v[38:39], -v[40:41]
	v_fma_f64 v[8:9], v[56:57], v[86:87], v[118:119]
	v_fma_f64 v[14:15], v[14:15], v[86:87], -v[88:89]
	v_fma_f64 v[40:41], v[10:11], v[82:83], -v[84:85]
	v_fma_f64 v[10:11], v[58:59], v[90:91], v[120:121]
	v_fma_f64 v[16:17], v[16:17], v[90:91], -v[92:93]
	v_fma_f64 v[12:13], v[12:13], v[52:53], -v[54:55]
	v_mul_f64 v[82:83], v[76:77], v[100:101]
	v_mul_f64 v[84:85], v[28:29], v[104:105]
	;; [unrolled: 1-line block ×6, first 2 shown]
	v_add_f64 v[42:43], v[2:3], v[26:27]
	v_add_f64 v[44:45], v[30:31], v[34:35]
	v_add_f64 v[46:47], v[38:39], -v[40:41]
	v_add_f64 v[52:53], v[8:9], v[10:11]
	v_add_f64 v[54:55], v[16:17], -v[14:15]
	v_add_f64 v[56:57], v[6:7], -v[12:13]
	v_fma_f64 v[24:25], v[24:25], v[106:107], -v[90:91]
	v_add_f64 v[58:59], v[44:45], v[42:43]
	v_add_f64 v[60:61], v[42:43], -v[52:53]
	v_add_f64 v[62:63], v[54:55], -v[46:47]
	;; [unrolled: 1-line block ×3, first 2 shown]
	v_add_f64 v[46:47], v[54:55], v[46:47]
	v_add_f64 v[54:55], v[56:57], -v[54:55]
	v_add_f64 v[42:43], v[44:45], -v[42:43]
	v_add_f64 v[58:59], v[52:53], v[58:59]
	v_add_f64 v[52:53], v[52:53], -v[44:45]
	v_mul_f64 v[60:61], v[60:61], s[4:5]
	v_mul_f64 v[62:63], v[62:63], s[14:15]
	;; [unrolled: 1-line block ×3, first 2 shown]
	v_add_f64 v[46:47], v[46:47], v[56:57]
	v_add_f64 v[80:81], v[80:81], v[58:59]
	v_mul_f64 v[44:45], v[52:53], s[16:17]
	v_fma_f64 v[52:53], v[52:53], s[16:17], v[60:61]
	v_fma_f64 v[56:57], v[54:55], s[24:25], v[62:63]
	v_fma_f64 v[62:63], v[64:65], s[10:11], -v[62:63]
	v_fma_f64 v[54:55], v[54:55], s[26:27], -v[66:67]
	;; [unrolled: 1-line block ×3, first 2 shown]
	v_mul_f64 v[64:65], v[78:79], v[96:97]
	v_mul_f64 v[66:67], v[32:33], v[100:101]
	;; [unrolled: 1-line block ×4, first 2 shown]
	v_fma_f64 v[58:59], v[58:59], s[18:19], v[80:81]
	v_fma_f64 v[42:43], v[42:43], s[20:21], -v[44:45]
	v_mul_f64 v[44:45], v[36:37], v[96:97]
	v_mul_f64 v[96:97], v[50:51], v[112:113]
	v_fma_f64 v[50:51], v[50:51], v[110:111], v[92:93]
	v_fma_f64 v[104:105], v[46:47], s[28:29], v[56:57]
	;; [unrolled: 1-line block ×4, first 2 shown]
	v_fma_f64 v[46:47], v[32:33], v[98:99], -v[82:83]
	v_fma_f64 v[32:33], v[74:75], v[102:103], v[84:85]
	v_fma_f64 v[54:55], v[0:1], v[114:115], v[100:101]
	v_fma_f64 v[22:23], v[22:23], v[114:115], -v[116:117]
	v_add_f64 v[112:113], v[52:53], v[58:59]
	v_add_f64 v[60:61], v[60:61], v[58:59]
	v_add_f64 v[58:59], v[42:43], v[58:59]
	v_fma_f64 v[42:43], v[78:79], v[94:95], v[44:45]
	v_fma_f64 v[44:45], v[36:37], v[94:95], -v[64:65]
	v_fma_f64 v[36:37], v[76:77], v[98:99], v[66:67]
	v_fma_f64 v[52:53], v[28:29], v[102:103], -v[86:87]
	;; [unrolled: 2-line block ×3, first 2 shown]
	v_add_f64 v[0:1], v[104:105], v[112:113]
	v_add_f64 v[4:5], v[108:109], v[60:61]
	v_add_f64 v[64:65], v[58:59], -v[62:63]
	v_add_f64 v[62:63], v[62:63], v[58:59]
	v_add_f64 v[66:67], v[60:61], -v[108:109]
	v_add_f64 v[72:73], v[112:113], -v[104:105]
	v_and_b32_e32 v58, 0xffff, v122
	v_lshlrev_b32_e32 v60, 3, v123
	s_delay_alu instid0(VALU_DEP_2) | instskip(SKIP_1) | instid1(VALU_DEP_2)
	v_mad_u32_u24 v59, 0x2d8, v58, 0
	v_and_b32_e32 v58, 0xffff, v124
	v_add3_u32 v60, v59, v60, v156
	v_lshlrev_b32_e32 v59, 3, v125
	ds_store_2addr_b64 v60, v[80:81], v[0:1] offset1:13
	ds_store_2addr_b64 v60, v[4:5], v[64:65] offset0:26 offset1:39
	ds_store_2addr_b64 v60, v[62:63], v[66:67] offset0:52 offset1:65
	ds_store_b64 v60, v[72:73] offset:624
	s_and_saveexec_b32 s1, s0
	s_cbranch_execz .LBB0_23
; %bb.22:
	v_add_f64 v[0:1], v[36:37], v[50:51]
	v_add_f64 v[4:5], v[42:43], v[54:55]
	v_add_f64 v[61:62], v[24:25], -v[52:53]
	v_add_f64 v[63:64], v[46:47], -v[56:57]
	v_add_f64 v[65:66], v[32:33], v[28:29]
	v_add_f64 v[72:73], v[44:45], -v[22:23]
	v_add_f64 v[74:75], v[0:1], v[4:5]
	s_delay_alu instid0(VALU_DEP_4) | instskip(NEXT) | instid1(VALU_DEP_4)
	v_add_f64 v[76:77], v[61:62], -v[63:64]
	v_add_f64 v[78:79], v[4:5], -v[65:66]
	s_delay_alu instid0(VALU_DEP_4)
	v_add_f64 v[80:81], v[63:64], -v[72:73]
	v_add_f64 v[63:64], v[61:62], v[63:64]
	v_add_f64 v[61:62], v[72:73], -v[61:62]
	v_add_f64 v[74:75], v[65:66], v[74:75]
	v_add_f64 v[65:66], v[65:66], -v[0:1]
	v_add_f64 v[0:1], v[0:1], -v[4:5]
	v_mul_f64 v[4:5], v[76:77], s[14:15]
	v_mul_f64 v[76:77], v[78:79], s[4:5]
	;; [unrolled: 1-line block ×3, first 2 shown]
	v_add_f64 v[63:64], v[63:64], v[72:73]
	v_add_f64 v[48:49], v[48:49], v[74:75]
	v_mul_f64 v[82:83], v[65:66], s[16:17]
	v_fma_f64 v[72:73], v[61:62], s[24:25], v[4:5]
	v_fma_f64 v[65:66], v[65:66], s[16:17], v[76:77]
	v_fma_f64 v[84:85], v[0:1], s[22:23], -v[76:77]
	v_fma_f64 v[61:62], v[61:62], s[26:27], -v[78:79]
	;; [unrolled: 1-line block ×3, first 2 shown]
	v_fma_f64 v[74:75], v[74:75], s[18:19], v[48:49]
	v_fma_f64 v[0:1], v[0:1], s[20:21], -v[82:83]
	v_fma_f64 v[72:73], v[63:64], s[28:29], v[72:73]
	v_fma_f64 v[61:62], v[63:64], s[28:29], v[61:62]
	;; [unrolled: 1-line block ×3, first 2 shown]
	v_add_f64 v[65:66], v[65:66], v[74:75]
	v_add_f64 v[63:64], v[84:85], v[74:75]
	;; [unrolled: 1-line block ×3, first 2 shown]
	s_delay_alu instid0(VALU_DEP_3) | instskip(NEXT) | instid1(VALU_DEP_3)
	v_add_f64 v[78:79], v[72:73], v[65:66]
	v_add_f64 v[74:75], v[63:64], -v[61:62]
	s_delay_alu instid0(VALU_DEP_3) | instskip(SKIP_4) | instid1(VALU_DEP_1)
	v_add_f64 v[76:77], v[0:1], -v[4:5]
	v_add_f64 v[61:62], v[61:62], v[63:64]
	v_add_f64 v[0:1], v[4:5], v[0:1]
	v_add_f64 v[4:5], v[65:66], -v[72:73]
	v_mad_u32_u24 v63, 0x2d8, v58, 0
	v_add3_u32 v63, v63, v59, v156
	ds_store_2addr_b64 v63, v[48:49], v[78:79] offset1:13
	ds_store_2addr_b64 v63, v[61:62], v[76:77] offset0:26 offset1:39
	ds_store_2addr_b64 v63, v[0:1], v[74:75] offset0:52 offset1:65
	ds_store_b64 v63, v[4:5] offset:624
.LBB0_23:
	s_or_b32 exec_lo, exec_lo, s1
	v_add_f64 v[0:1], v[6:7], v[12:13]
	v_add_f64 v[4:5], v[38:39], v[40:41]
	v_add_f64 v[6:7], v[30:31], -v[34:35]
	v_add_f64 v[12:13], v[14:15], v[16:17]
	v_add_f64 v[8:9], v[10:11], -v[8:9]
	v_add_f64 v[2:3], v[2:3], -v[26:27]
	s_waitcnt lgkmcnt(0)
	s_barrier
	buffer_gl0_inv
	ds_load_b64 v[64:65], v157
	v_add_f64 v[10:11], v[4:5], v[0:1]
	v_add_f64 v[14:15], v[0:1], -v[12:13]
	v_add_f64 v[16:17], v[8:9], -v[6:7]
	;; [unrolled: 1-line block ×3, first 2 shown]
	v_add_f64 v[6:7], v[8:9], v[6:7]
	v_add_f64 v[8:9], v[2:3], -v[8:9]
	v_add_f64 v[0:1], v[4:5], -v[0:1]
	v_add_f64 v[10:11], v[12:13], v[10:11]
	v_add_f64 v[12:13], v[12:13], -v[4:5]
	v_mul_f64 v[14:15], v[14:15], s[4:5]
	v_mul_f64 v[16:17], v[16:17], s[14:15]
	;; [unrolled: 1-line block ×3, first 2 shown]
	v_add_f64 v[2:3], v[6:7], v[2:3]
	v_add_f64 v[34:35], v[18:19], v[10:11]
	v_mul_f64 v[4:5], v[12:13], s[16:17]
	v_fma_f64 v[6:7], v[12:13], s[16:17], v[14:15]
	v_fma_f64 v[12:13], v[8:9], s[24:25], v[16:17]
	v_fma_f64 v[16:17], v[26:27], s[10:11], -v[16:17]
	v_fma_f64 v[8:9], v[8:9], s[26:27], -v[30:31]
	;; [unrolled: 1-line block ×3, first 2 shown]
	v_fma_f64 v[10:11], v[10:11], s[18:19], v[34:35]
	v_fma_f64 v[0:1], v[0:1], s[20:21], -v[4:5]
	v_fma_f64 v[4:5], v[2:3], s[28:29], v[12:13]
	v_fma_f64 v[12:13], v[2:3], s[28:29], v[16:17]
	;; [unrolled: 1-line block ×3, first 2 shown]
	v_add_f64 v[6:7], v[6:7], v[10:11]
	v_add_f64 v[8:9], v[14:15], v[10:11]
	;; [unrolled: 1-line block ×3, first 2 shown]
	s_delay_alu instid0(VALU_DEP_3) | instskip(NEXT) | instid1(VALU_DEP_3)
	v_add_f64 v[26:27], v[6:7], -v[4:5]
	v_add_f64 v[30:31], v[8:9], -v[2:3]
	s_delay_alu instid0(VALU_DEP_3)
	v_add_f64 v[38:39], v[12:13], v[0:1]
	v_add_f64 v[40:41], v[0:1], -v[12:13]
	v_add_f64 v[48:49], v[2:3], v[8:9]
	v_add_f64 v[61:62], v[4:5], v[6:7]
	v_add_nc_u32_e32 v0, 0x800, v158
	v_add_nc_u32_e32 v1, 0xc00, v158
	;; [unrolled: 1-line block ×4, first 2 shown]
	ds_load_2addr_b64 v[16:19], v158 offset0:91 offset1:182
	ds_load_2addr_b64 v[8:11], v0 offset0:17 offset1:108
	;; [unrolled: 1-line block ×5, first 2 shown]
	s_waitcnt lgkmcnt(0)
	s_barrier
	buffer_gl0_inv
	ds_store_2addr_b64 v60, v[34:35], v[26:27] offset1:13
	ds_store_2addr_b64 v60, v[30:31], v[38:39] offset0:26 offset1:39
	ds_store_2addr_b64 v60, v[40:41], v[48:49] offset0:52 offset1:65
	ds_store_b64 v60, v[61:62] offset:624
	s_and_saveexec_b32 s1, s0
	s_cbranch_execz .LBB0_25
; %bb.24:
	v_add_f64 v[22:23], v[44:45], v[22:23]
	v_add_f64 v[26:27], v[46:47], v[56:57]
	;; [unrolled: 1-line block ×3, first 2 shown]
	v_add_f64 v[30:31], v[36:37], -v[50:51]
	v_add_f64 v[28:29], v[28:29], -v[32:33]
	;; [unrolled: 1-line block ×3, first 2 shown]
	s_mov_b32 s10, 0x36b3c0b5
	s_mov_b32 s11, 0x3fac98ee
	;; [unrolled: 1-line block ×6, first 2 shown]
	v_add_f64 v[34:35], v[26:27], v[22:23]
	v_add_f64 v[36:37], v[22:23], -v[24:25]
	v_add_f64 v[38:39], v[24:25], -v[26:27]
	;; [unrolled: 1-line block ×5, first 2 shown]
	v_add_f64 v[26:27], v[28:29], v[30:31]
	v_add_f64 v[28:29], v[32:33], -v[28:29]
	v_add_f64 v[24:25], v[24:25], v[34:35]
	v_mul_f64 v[30:31], v[36:37], s[4:5]
	s_mov_b32 s4, 0x429ad128
	v_mul_f64 v[36:37], v[40:41], s[14:15]
	s_mov_b32 s5, 0xbfebfeb5
	v_mul_f64 v[34:35], v[38:39], s[10:11]
	v_mul_f64 v[40:41], v[42:43], s[4:5]
	s_mov_b32 s14, 0xaaaaaaaa
	s_mov_b32 s15, 0xbff2aaaa
	v_add_f64 v[26:27], v[26:27], v[32:33]
	v_add_f64 v[20:21], v[20:21], v[24:25]
	v_fma_f64 v[32:33], v[38:39], s[10:11], v[30:31]
	v_fma_f64 v[38:39], v[28:29], s[18:19], v[36:37]
	s_mov_b32 s19, 0x3fd5d0dc
	v_fma_f64 v[34:35], v[22:23], s[16:17], -v[34:35]
	s_mov_b32 s17, 0xbfe77f67
	v_fma_f64 v[36:37], v[42:43], s[4:5], -v[36:37]
	v_fma_f64 v[28:29], v[28:29], s[18:19], -v[40:41]
	;; [unrolled: 1-line block ×3, first 2 shown]
	s_mov_b32 s4, 0x37c3f68c
	s_mov_b32 s5, 0xbfdc38aa
	v_fma_f64 v[24:25], v[24:25], s[14:15], v[20:21]
	v_fma_f64 v[30:31], v[26:27], s[4:5], v[38:39]
	;; [unrolled: 1-line block ×4, first 2 shown]
	s_delay_alu instid0(VALU_DEP_4) | instskip(SKIP_2) | instid1(VALU_DEP_3)
	v_add_f64 v[28:29], v[32:33], v[24:25]
	v_add_f64 v[22:23], v[22:23], v[24:25]
	;; [unrolled: 1-line block ×3, first 2 shown]
	v_add_f64 v[32:33], v[28:29], -v[30:31]
	s_delay_alu instid0(VALU_DEP_3) | instskip(NEXT) | instid1(VALU_DEP_3)
	v_add_f64 v[34:35], v[22:23], -v[26:27]
	v_add_f64 v[38:39], v[36:37], v[24:25]
	v_add_f64 v[24:25], v[24:25], -v[36:37]
	v_add_f64 v[22:23], v[26:27], v[22:23]
	v_add_f64 v[26:27], v[30:31], v[28:29]
	v_mad_u32_u24 v28, 0x2d8, v58, 0
	s_delay_alu instid0(VALU_DEP_1)
	v_add3_u32 v28, v28, v59, v156
	ds_store_2addr_b64 v28, v[20:21], v[32:33] offset1:13
	ds_store_2addr_b64 v28, v[34:35], v[38:39] offset0:26 offset1:39
	ds_store_2addr_b64 v28, v[24:25], v[22:23] offset0:52 offset1:65
	ds_store_b64 v28, v[26:27] offset:624
.LBB0_25:
	s_or_b32 exec_lo, exec_lo, s1
	s_waitcnt lgkmcnt(0)
	s_barrier
	buffer_gl0_inv
	s_and_saveexec_b32 s0, vcc_lo
	s_cbranch_execz .LBB0_27
; %bb.26:
	v_add_nc_u32_e32 v146, 0x333, v154
	v_mul_u32_u24_e32 v20, 10, v155
	v_add_nc_u32_e32 v147, 0x38e, v154
	v_mul_lo_u32 v75, s3, v70
	v_mul_lo_u32 v76, s2, v71
	v_mad_u64_u32 v[112:113], null, s12, v146, 0
	v_add_nc_u32_e32 v138, 0x111, v154
	v_mad_u64_u32 v[114:115], null, s12, v147, 0
	v_add_nc_u32_e32 v142, 0x1c7, v154
	v_mad_u64_u32 v[71:72], null, s2, v70, 0
	s_delay_alu instid0(VALU_DEP_4) | instskip(SKIP_4) | instid1(VALU_DEP_4)
	v_mad_u64_u32 v[100:101], null, s12, v138, 0
	v_add_nc_u32_e32 v141, 0x16c, v154
	v_mad_u64_u32 v[73:74], null, s12, v154, 0
	v_add_nc_u32_e32 v144, 0x27d, v154
	v_add_nc_u32_e32 v77, 0x800, v158
	v_mad_u64_u32 v[102:103], null, s12, v141, 0
	v_lshlrev_b32_e32 v24, 4, v20
	s_clause 0x9
	global_load_b128 v[60:63], v24, s[8:9] offset:1248
	global_load_b128 v[52:55], v24, s[8:9] offset:1264
	;; [unrolled: 1-line block ×10, first 2 shown]
	ds_load_2addr_b64 v[56:59], v158 offset0:91 offset1:182
	v_mad_u64_u32 v[108:109], null, s12, v144, 0
	v_add_nc_u32_e32 v78, 0x1000, v158
	v_add_nc_u32_e32 v79, 0x1800, v158
	ds_load_b64 v[66:67], v157
	v_add3_u32 v72, v72, v76, v75
	v_add_nc_u32_e32 v137, 0xb6, v154
	s_mov_b32 s22, 0xbb3a28a1
	s_mov_b32 s14, 0xf8bb580b
	;; [unrolled: 1-line block ×4, first 2 shown]
	v_mad_u64_u32 v[98:99], null, s12, v137, 0
	s_mov_b32 s19, 0x3fed1bb4
	s_mov_b32 s18, 0x8eee2c13
	;; [unrolled: 1-line block ×6, first 2 shown]
	s_delay_alu instid0(VALU_DEP_1)
	v_mov_b32_e32 v76, v99
	s_mov_b32 s24, s14
	s_mov_b32 s21, 0xbfefac9e
	;; [unrolled: 1-line block ×16, first 2 shown]
	v_lshlrev_b64 v[68:69], 4, v[68:69]
	s_waitcnt vmcnt(9)
	v_mul_f64 v[96:97], v[16:17], v[62:63]
	v_mul_f64 v[16:17], v[16:17], v[60:61]
	s_waitcnt vmcnt(7)
	v_mul_f64 v[116:117], v[8:9], v[50:51]
	s_waitcnt vmcnt(5)
	v_mul_f64 v[118:119], v[0:1], v[20:21]
	s_waitcnt vmcnt(4)
	v_mul_f64 v[120:121], v[2:3], v[44:45]
	s_waitcnt vmcnt(3)
	v_mul_f64 v[126:127], v[10:11], v[38:39]
	s_waitcnt vmcnt(2)
	v_mul_f64 v[124:125], v[12:13], v[32:33]
	s_waitcnt vmcnt(1)
	v_mul_f64 v[128:129], v[4:5], v[28:29]
	v_mul_f64 v[132:133], v[4:5], v[30:31]
	s_waitcnt vmcnt(0)
	v_mul_f64 v[130:131], v[6:7], v[24:25]
	v_mul_f64 v[6:7], v[6:7], v[26:27]
	;; [unrolled: 1-line block ×5, first 2 shown]
	s_waitcnt lgkmcnt(1)
	v_fma_f64 v[60:61], v[56:57], v[60:61], -v[96:97]
	v_fma_f64 v[16:17], v[56:57], v[62:63], v[16:17]
	v_mov_b32_e32 v57, v103
	v_mov_b32_e32 v103, v115
	v_mad_u64_u32 v[104:105], null, s12, v142, 0
	v_dual_mov_b32 v56, v101 :: v_dual_add_nc_u32 v143, 0x222, v154
	v_mov_b32_e32 v101, v113
	v_mul_f64 v[62:63], v[8:9], v[48:49]
	v_mad_u64_u32 v[139:140], null, s13, v141, v[57:58]
	v_mov_b32_e32 v4, v105
	v_mad_u64_u32 v[106:107], null, s12, v143, 0
	s_delay_alu instid0(VALU_DEP_1)
	v_dual_mov_b32 v5, v107 :: v_dual_add_nc_u32 v70, 0xc00, v158
	ds_load_2addr_b64 v[80:83], v70 offset0:71 offset1:162
	ds_load_2addr_b64 v[84:87], v77 offset0:17 offset1:108
	;; [unrolled: 1-line block ×4, first 2 shown]
	v_mov_b32_e32 v70, v74
	v_mul_f64 v[74:75], v[18:19], v[54:55]
	v_mul_f64 v[18:19], v[18:19], v[52:53]
	s_delay_alu instid0(VALU_DEP_3)
	v_mad_u64_u32 v[96:97], null, s13, v154, v[70:71]
	v_add_nc_u32_e32 v145, 0x2d8, v154
	v_lshlrev_b64 v[70:71], 4, v[71:72]
	v_mov_b32_e32 v97, v109
	s_waitcnt lgkmcnt(3)
	v_fma_f64 v[30:31], v[80:81], v[30:31], v[128:129]
	v_fma_f64 v[26:27], v[82:83], v[26:27], v[130:131]
	s_waitcnt lgkmcnt(1)
	v_fma_f64 v[32:33], v[88:89], v[32:33], -v[12:13]
	v_fma_f64 v[28:29], v[80:81], v[28:29], -v[132:133]
	;; [unrolled: 1-line block ×3, first 2 shown]
	s_waitcnt lgkmcnt(0)
	v_fma_f64 v[2:3], v[94:95], v[44:45], -v[2:3]
	v_add_co_u32 v12, vcc_lo, s6, v70
	v_fma_f64 v[50:51], v[84:85], v[50:51], v[62:63]
	v_add_co_ci_u32_e32 v13, vcc_lo, s7, v71, vcc_lo
	s_delay_alu instid0(VALU_DEP_3) | instskip(NEXT) | instid1(VALU_DEP_2)
	v_add_co_u32 v12, vcc_lo, v12, v68
	v_add_co_ci_u32_e32 v13, vcc_lo, v13, v69, vcc_lo
	v_fma_f64 v[52:53], v[58:59], v[52:53], -v[74:75]
	v_mov_b32_e32 v74, v96
	v_mad_u64_u32 v[110:111], null, s12, v145, 0
	v_add_nc_u32_e32 v136, 0x5b, v154
	v_fma_f64 v[18:19], v[58:59], v[54:55], v[18:19]
	v_add_f64 v[54:55], v[64:65], v[16:17]
	v_lshlrev_b64 v[68:69], 4, v[73:74]
	v_mov_b32_e32 v99, v111
	v_mad_u64_u32 v[77:78], null, s12, v136, 0
	s_delay_alu instid0(VALU_DEP_3) | instskip(NEXT) | instid1(VALU_DEP_4)
	v_add_co_u32 v68, vcc_lo, v12, v68
	v_add_co_ci_u32_e32 v69, vcc_lo, v13, v69, vcc_lo
	s_delay_alu instid0(VALU_DEP_3) | instskip(SKIP_3) | instid1(VALU_DEP_4)
	v_mov_b32_e32 v72, v78
	v_mul_f64 v[78:79], v[14:15], v[40:41]
	v_mul_f64 v[14:15], v[14:15], v[42:43]
	v_add_f64 v[62:63], v[28:29], -v[24:25]
	v_mad_u64_u32 v[134:135], null, s13, v136, v[72:73]
	v_mad_u64_u32 v[135:136], null, s13, v137, v[76:77]
	;; [unrolled: 1-line block ×3, first 2 shown]
	v_mul_f64 v[137:138], v[0:1], v[22:23]
	v_add_f64 v[75:76], v[66:67], v[60:61]
	v_mad_u64_u32 v[56:57], null, s13, v142, v[4:5]
	v_mad_u64_u32 v[57:58], null, s13, v143, v[5:6]
	v_fma_f64 v[4:5], v[92:93], v[22:23], v[118:119]
	v_fma_f64 v[22:23], v[88:89], v[34:35], v[124:125]
	v_fma_f64 v[34:35], v[86:87], v[36:37], -v[126:127]
	v_mad_u64_u32 v[36:37], null, s13, v144, v[97:98]
	v_fma_f64 v[0:1], v[94:95], v[46:47], v[120:121]
	v_mov_b32_e32 v105, v56
	v_mov_b32_e32 v107, v57
	v_add_f64 v[56:57], v[30:31], -v[26:27]
	v_add_f64 v[58:59], v[60:61], -v[2:3]
	v_add_f64 v[96:97], v[28:29], v[24:25]
	v_mov_b32_e32 v109, v36
	v_lshlrev_b64 v[80:81], 4, v[106:107]
	s_delay_alu instid0(VALU_DEP_2)
	v_lshlrev_b64 v[82:83], 4, v[108:109]
	v_fma_f64 v[8:9], v[90:91], v[42:43], v[78:79]
	v_fma_f64 v[10:11], v[90:91], v[40:41], -v[14:15]
	v_fma_f64 v[14:15], v[86:87], v[38:39], v[122:123]
	v_mad_u64_u32 v[37:38], null, s13, v145, v[99:100]
	v_mad_u64_u32 v[38:39], null, s13, v146, v[101:102]
	v_mov_b32_e32 v78, v134
	v_mad_u64_u32 v[39:40], null, s13, v147, v[103:104]
	v_fma_f64 v[42:43], v[84:85], v[48:49], -v[116:117]
	v_fma_f64 v[6:7], v[92:93], v[20:21], -v[137:138]
	v_add_f64 v[20:21], v[52:53], v[75:76]
	v_add_f64 v[40:41], v[18:19], v[54:55]
	v_mov_b32_e32 v111, v37
	v_mov_b32_e32 v113, v38
	;; [unrolled: 1-line block ×3, first 2 shown]
	v_add_f64 v[46:47], v[18:19], -v[4:5]
	v_add_f64 v[38:39], v[34:35], -v[32:33]
	v_mov_b32_e32 v99, v135
	v_lshlrev_b64 v[70:71], 4, v[77:78]
	v_add_f64 v[48:49], v[16:17], -v[0:1]
	v_lshlrev_b64 v[78:79], 4, v[104:105]
	v_lshlrev_b64 v[88:89], 4, v[114:115]
	v_mul_f64 v[124:125], v[56:57], s[18:19]
	v_mul_f64 v[126:127], v[62:63], s[18:19]
	v_lshlrev_b64 v[84:85], 4, v[110:111]
	v_lshlrev_b64 v[86:87], 4, v[112:113]
	v_add_f64 v[16:17], v[16:17], v[0:1]
	v_mul_f64 v[146:147], v[58:59], s[24:25]
	v_mov_b32_e32 v101, v136
	v_mul_f64 v[108:109], v[58:59], s[16:17]
	v_mul_f64 v[118:119], v[58:59], s[22:23]
	;; [unrolled: 1-line block ×3, first 2 shown]
	v_mov_b32_e32 v103, v139
	v_add_f64 v[18:19], v[18:19], v[4:5]
	v_lshlrev_b64 v[74:75], 4, v[100:101]
	v_lshlrev_b64 v[72:73], 4, v[98:99]
	v_add_f64 v[44:45], v[50:51], -v[8:9]
	v_lshlrev_b64 v[76:77], 4, v[102:103]
	v_add_f64 v[36:37], v[14:15], -v[22:23]
	v_add_f64 v[94:95], v[14:15], v[22:23]
	v_add_f64 v[98:99], v[30:31], v[26:27]
	v_mul_f64 v[164:165], v[56:57], s[20:21]
	v_mul_f64 v[166:167], v[62:63], s[20:21]
	;; [unrolled: 1-line block ×5, first 2 shown]
	v_add_f64 v[54:55], v[42:43], -v[10:11]
	v_add_f64 v[90:91], v[42:43], v[10:11]
	v_add_f64 v[20:21], v[42:43], v[20:21]
	v_add_f64 v[40:41], v[50:51], v[40:41]
	v_add_f64 v[92:93], v[52:53], v[6:7]
	v_add_f64 v[42:43], v[52:53], -v[6:7]
	v_add_f64 v[52:53], v[60:61], v[2:3]
	v_mul_f64 v[112:113], v[46:47], s[26:27]
	v_mul_f64 v[122:123], v[38:39], s[18:19]
	v_add_f64 v[60:61], v[50:51], v[8:9]
	v_mul_f64 v[102:103], v[46:47], s[14:15]
	v_mul_f64 v[104:105], v[48:49], s[16:17]
	;; [unrolled: 1-line block ×7, first 2 shown]
	v_add_f64 v[50:51], v[34:35], v[32:33]
	v_mul_f64 v[158:159], v[38:39], s[24:25]
	v_fma_f64 v[198:199], v[16:17], s[8:9], v[146:147]
	v_fma_f64 v[146:147], v[16:17], s[8:9], -v[146:147]
	v_fma_f64 v[182:183], v[16:17], s[10:11], -v[108:109]
	v_fma_f64 v[108:109], v[16:17], s[10:11], v[108:109]
	v_fma_f64 v[192:193], v[16:17], s[0:1], -v[118:119]
	v_fma_f64 v[194:195], v[16:17], s[4:5], -v[136:137]
	v_fma_f64 v[136:137], v[16:17], s[4:5], v[136:137]
	v_mul_f64 v[162:163], v[38:39], s[26:27]
	v_mul_f64 v[56:57], v[56:57], s[16:17]
	;; [unrolled: 1-line block ×13, first 2 shown]
	s_mov_b32 s19, 0xbfed1bb4
	v_add_f64 v[20:21], v[34:35], v[20:21]
	v_add_f64 v[14:15], v[14:15], v[40:41]
	v_mul_f64 v[48:49], v[48:49], s[18:19]
	v_mul_f64 v[58:59], v[58:59], s[18:19]
	;; [unrolled: 1-line block ×7, first 2 shown]
	v_fma_f64 v[178:179], v[52:53], s[10:11], v[104:105]
	v_fma_f64 v[104:105], v[52:53], s[10:11], -v[104:105]
	v_fma_f64 v[188:189], v[52:53], s[0:1], v[114:115]
	v_fma_f64 v[196:197], v[52:53], s[8:9], -v[144:145]
	v_mul_f64 v[152:153], v[42:43], s[22:23]
	v_mul_f64 v[42:43], v[42:43], s[18:19]
	v_fma_f64 v[186:187], v[92:93], s[4:5], v[112:113]
	v_fma_f64 v[144:145], v[52:53], s[8:9], v[144:145]
	v_mul_f64 v[142:143], v[54:55], s[28:29]
	v_fma_f64 v[176:177], v[92:93], s[8:9], v[102:103]
	v_fma_f64 v[102:103], v[92:93], s[8:9], -v[102:103]
	v_mul_f64 v[106:107], v[54:55], s[22:23]
	v_mul_f64 v[54:55], v[54:55], s[20:21]
	v_fma_f64 v[204:205], v[92:93], s[0:1], v[140:141]
	v_fma_f64 v[140:141], v[92:93], s[0:1], -v[140:141]
	v_add_f64 v[198:199], v[64:65], v[198:199]
	v_add_f64 v[108:109], v[64:65], v[108:109]
	;; [unrolled: 1-line block ×3, first 2 shown]
	v_fma_f64 v[184:185], v[90:91], s[8:9], v[110:111]
	v_add_f64 v[136:137], v[64:65], v[136:137]
	v_add_f64 v[194:195], v[64:65], v[194:195]
	;; [unrolled: 1-line block ×3, first 2 shown]
	v_fma_f64 v[174:175], v[90:91], s[0:1], v[100:101]
	v_fma_f64 v[100:101], v[90:91], s[0:1], -v[100:101]
	v_mul_f64 v[40:41], v[38:39], s[16:17]
	v_mul_f64 v[38:39], v[38:39], s[22:23]
	v_add_co_u32 v70, vcc_lo, v12, v70
	v_add_co_ci_u32_e32 v71, vcc_lo, v13, v71, vcc_lo
	v_add_f64 v[20:21], v[28:29], v[20:21]
	v_add_f64 v[14:15], v[30:31], v[14:15]
	v_fma_f64 v[28:29], v[90:91], s[8:9], -v[110:111]
	v_fma_f64 v[110:111], v[92:93], s[4:5], -v[112:113]
	;; [unrolled: 1-line block ×4, first 2 shown]
	v_fma_f64 v[202:203], v[16:17], s[2:3], v[58:59]
	v_fma_f64 v[190:191], v[60:61], s[8:9], -v[116:117]
	v_fma_f64 v[114:115], v[60:61], s[8:9], v[116:117]
	v_fma_f64 v[116:117], v[16:17], s[0:1], v[118:119]
	;; [unrolled: 1-line block ×3, first 2 shown]
	v_fma_f64 v[132:133], v[52:53], s[4:5], -v[132:133]
	v_fma_f64 v[48:49], v[52:53], s[2:3], v[48:49]
	v_fma_f64 v[16:17], v[16:17], s[2:3], -v[58:59]
	v_fma_f64 v[210:211], v[92:93], s[2:3], v[46:47]
	v_fma_f64 v[46:47], v[92:93], s[2:3], -v[46:47]
	v_add_f64 v[104:105], v[66:67], v[104:105]
	v_add_f64 v[188:189], v[66:67], v[188:189]
	;; [unrolled: 1-line block ×3, first 2 shown]
	v_fma_f64 v[30:31], v[92:93], s[10:11], v[130:131]
	v_fma_f64 v[130:131], v[92:93], s[10:11], -v[130:131]
	v_fma_f64 v[52:53], v[18:19], s[8:9], -v[34:35]
	v_fma_f64 v[34:35], v[18:19], s[8:9], v[34:35]
	v_fma_f64 v[206:207], v[18:19], s[4:5], -v[148:149]
	v_fma_f64 v[58:59], v[18:19], s[4:5], v[148:149]
	;; [unrolled: 2-line block ×5, first 2 shown]
	v_add_f64 v[42:43], v[64:65], v[182:183]
	v_add_f64 v[178:179], v[66:67], v[178:179]
	;; [unrolled: 1-line block ×3, first 2 shown]
	v_fma_f64 v[182:183], v[90:91], s[2:3], v[128:129]
	v_fma_f64 v[128:129], v[90:91], s[2:3], -v[128:129]
	v_fma_f64 v[180:181], v[60:61], s[0:1], -v[106:107]
	v_fma_f64 v[106:107], v[60:61], s[0:1], v[106:107]
	v_add_f64 v[20:21], v[24:25], v[20:21]
	v_add_f64 v[14:15], v[26:27], v[14:15]
	v_fma_f64 v[26:27], v[90:91], s[10:11], v[138:139]
	v_fma_f64 v[138:139], v[90:91], s[10:11], -v[138:139]
	v_add_f64 v[112:113], v[66:67], v[112:113]
	v_add_f64 v[200:201], v[66:67], v[200:201]
	;; [unrolled: 1-line block ×3, first 2 shown]
	v_fma_f64 v[24:25], v[60:61], s[2:3], -v[134:135]
	v_fma_f64 v[134:135], v[60:61], s[2:3], v[134:135]
	v_add_f64 v[116:117], v[64:65], v[116:117]
	v_add_f64 v[118:119], v[66:67], v[118:119]
	;; [unrolled: 1-line block ×5, first 2 shown]
	v_fma_f64 v[66:67], v[60:61], s[10:11], -v[142:143]
	v_fma_f64 v[64:65], v[60:61], s[10:11], v[142:143]
	v_fma_f64 v[142:143], v[90:91], s[4:5], v[44:45]
	v_fma_f64 v[44:45], v[90:91], s[4:5], -v[44:45]
	v_add_f64 v[102:103], v[102:103], v[104:105]
	v_add_f64 v[186:187], v[186:187], v[188:189]
	;; [unrolled: 1-line block ×3, first 2 shown]
	v_fma_f64 v[90:91], v[60:61], s[4:5], -v[54:55]
	v_fma_f64 v[54:55], v[60:61], s[4:5], v[54:55]
	v_add_f64 v[34:35], v[34:35], v[108:109]
	v_add_f64 v[188:189], v[206:207], v[192:193]
	v_mul_f64 v[60:61], v[62:63], s[14:15]
	v_mul_f64 v[62:63], v[62:63], s[16:17]
	v_fma_f64 v[104:105], v[50:51], s[10:11], v[154:155]
	v_fma_f64 v[154:155], v[50:51], s[10:11], -v[154:155]
	v_add_f64 v[92:93], v[92:93], v[146:147]
	v_add_f64 v[18:19], v[18:19], v[198:199]
	;; [unrolled: 1-line block ×4, first 2 shown]
	v_fma_f64 v[178:179], v[50:51], s[2:3], v[120:121]
	v_fma_f64 v[120:121], v[50:51], s[2:3], -v[120:121]
	v_fma_f64 v[146:147], v[50:51], s[4:5], v[160:161]
	v_fma_f64 v[52:53], v[94:95], s[2:3], -v[122:123]
	v_fma_f64 v[108:109], v[94:95], s[10:11], -v[40:41]
	v_add_f64 v[20:21], v[32:33], v[20:21]
	v_add_f64 v[14:15], v[22:23], v[14:15]
	v_fma_f64 v[40:41], v[94:95], s[10:11], v[40:41]
	v_fma_f64 v[122:123], v[94:95], s[2:3], v[122:123]
	v_add_f64 v[110:111], v[110:111], v[112:113]
	v_add_f64 v[22:23], v[140:141], v[200:201]
	;; [unrolled: 1-line block ×3, first 2 shown]
	v_fma_f64 v[140:141], v[50:51], s[8:9], -v[156:157]
	v_fma_f64 v[152:153], v[94:95], s[4:5], v[162:163]
	v_add_f64 v[58:59], v[58:59], v[116:117]
	v_add_f64 v[116:117], v[150:151], v[136:137]
	;; [unrolled: 1-line block ×8, first 2 shown]
	v_fma_f64 v[132:133], v[50:51], s[8:9], v[156:157]
	v_fma_f64 v[156:157], v[50:51], s[0:1], v[36:37]
	v_fma_f64 v[36:37], v[50:51], s[0:1], -v[36:37]
	v_add_f64 v[100:101], v[100:101], v[102:103]
	v_add_f64 v[102:103], v[184:185], v[186:187]
	;; [unrolled: 1-line block ×3, first 2 shown]
	v_fma_f64 v[150:151], v[50:51], s[4:5], -v[160:161]
	v_fma_f64 v[50:51], v[94:95], s[0:1], -v[38:39]
	v_fma_f64 v[38:39], v[94:95], s[0:1], v[38:39]
	v_add_f64 v[34:35], v[106:107], v[34:35]
	v_add_f64 v[106:107], v[190:191], v[188:189]
	v_fma_f64 v[144:145], v[94:95], s[8:9], v[158:159]
	v_fma_f64 v[136:137], v[94:95], s[8:9], -v[158:159]
	v_add_f64 v[18:19], v[54:55], v[18:19]
	v_add_f64 v[42:43], v[180:181], v[42:43]
	v_fma_f64 v[148:149], v[94:95], s[4:5], -v[162:163]
	v_fma_f64 v[94:95], v[96:97], s[4:5], v[164:165]
	v_fma_f64 v[160:161], v[96:97], s[4:5], -v[164:165]
	v_add_f64 v[164:165], v[174:175], v[176:177]
	v_add_f64 v[46:47], v[90:91], v[92:93]
	v_fma_f64 v[158:159], v[98:99], s[4:5], -v[166:167]
	v_add_f64 v[10:11], v[10:11], v[20:21]
	v_add_f64 v[8:9], v[8:9], v[14:15]
	v_fma_f64 v[162:163], v[98:99], s[4:5], v[166:167]
	v_fma_f64 v[54:55], v[98:99], s[2:3], -v[126:127]
	v_add_f64 v[28:29], v[28:29], v[110:111]
	v_add_f64 v[14:15], v[138:139], v[22:23]
	;; [unrolled: 1-line block ×3, first 2 shown]
	v_fma_f64 v[92:93], v[98:99], s[0:1], -v[170:171]
	v_fma_f64 v[64:65], v[96:97], s[2:3], -v[124:125]
	v_add_f64 v[58:59], v[114:115], v[58:59]
	v_add_f64 v[22:23], v[134:135], v[116:117]
	;; [unrolled: 1-line block ×8, first 2 shown]
	v_fma_f64 v[66:67], v[98:99], s[2:3], v[126:127]
	v_fma_f64 v[114:115], v[98:99], s[0:1], v[170:171]
	v_fma_f64 v[118:119], v[98:99], s[8:9], -v[60:61]
	v_fma_f64 v[60:61], v[98:99], s[8:9], v[60:61]
	v_fma_f64 v[128:129], v[98:99], s[10:11], -v[62:63]
	v_fma_f64 v[62:63], v[98:99], s[10:11], v[62:63]
	v_add_f64 v[98:99], v[104:105], v[102:103]
	v_add_f64 v[36:37], v[36:37], v[44:45]
	v_fma_f64 v[126:127], v[96:97], s[10:11], v[56:57]
	v_fma_f64 v[56:57], v[96:97], s[10:11], -v[56:57]
	v_fma_f64 v[48:49], v[96:97], s[2:3], v[124:125]
	v_fma_f64 v[124:125], v[96:97], s[8:9], -v[172:173]
	v_fma_f64 v[112:113], v[96:97], s[0:1], -v[168:169]
	v_add_f64 v[38:39], v[38:39], v[18:19]
	v_add_f64 v[42:43], v[52:53], v[42:43]
	;; [unrolled: 1-line block ×5, first 2 shown]
	v_fma_f64 v[90:91], v[96:97], s[0:1], v[168:169]
	v_fma_f64 v[116:117], v[96:97], s[8:9], v[172:173]
	v_add_f64 v[96:97], v[178:179], v[164:165]
	v_add_f64 v[44:45], v[6:7], v[10:11]
	;; [unrolled: 1-line block ×4, first 2 shown]
	v_add_co_u32 v72, vcc_lo, v12, v72
	v_add_f64 v[28:29], v[154:155], v[28:29]
	v_add_f64 v[104:105], v[150:151], v[14:15]
	;; [unrolled: 1-line block ×3, first 2 shown]
	v_add_co_ci_u32_e32 v73, vcc_lo, v13, v73, vcc_lo
	v_add_f64 v[40:41], v[40:41], v[58:59]
	v_add_f64 v[58:59], v[140:141], v[110:111]
	;; [unrolled: 1-line block ×8, first 2 shown]
	v_add_co_u32 v74, vcc_lo, v12, v74
	v_add_co_ci_u32_e32 v75, vcc_lo, v13, v75, vcc_lo
	v_add_f64 v[16:17], v[48:49], v[98:99]
	v_add_f64 v[26:27], v[62:63], v[38:39]
	;; [unrolled: 1-line block ×10, first 2 shown]
	v_add_co_u32 v46, vcc_lo, v12, v76
	v_add_f64 v[20:21], v[64:65], v[28:29]
	v_add_f64 v[28:29], v[56:57], v[36:37]
	v_add_f64 v[32:33], v[124:125], v[104:105]
	v_add_f64 v[30:31], v[60:61], v[106:107]
	v_add_co_ci_u32_e32 v47, vcc_lo, v13, v77, vcc_lo
	v_add_f64 v[24:25], v[112:113], v[58:59]
	v_add_f64 v[22:23], v[114:115], v[22:23]
	;; [unrolled: 1-line block ×8, first 2 shown]
	v_add_co_u32 v48, vcc_lo, v12, v78
	v_add_co_ci_u32_e32 v49, vcc_lo, v13, v79, vcc_lo
	v_add_co_u32 v50, vcc_lo, v12, v80
	v_add_co_ci_u32_e32 v51, vcc_lo, v13, v81, vcc_lo
	;; [unrolled: 2-line block ×6, first 2 shown]
	s_clause 0xa
	global_store_b128 v[68:69], v[0:3], off
	global_store_b128 v[70:71], v[26:29], off
	;; [unrolled: 1-line block ×11, first 2 shown]
.LBB0_27:
	s_nop 0
	s_sendmsg sendmsg(MSG_DEALLOC_VGPRS)
	s_endpgm
	.section	.rodata,"a",@progbits
	.p2align	6, 0x0
	.amdhsa_kernel fft_rtc_back_len1001_factors_13_7_11_wgs_182_tpt_91_halfLds_dp_op_CI_CI_sbrr_dirReg
		.amdhsa_group_segment_fixed_size 0
		.amdhsa_private_segment_fixed_size 0
		.amdhsa_kernarg_size 104
		.amdhsa_user_sgpr_count 15
		.amdhsa_user_sgpr_dispatch_ptr 0
		.amdhsa_user_sgpr_queue_ptr 0
		.amdhsa_user_sgpr_kernarg_segment_ptr 1
		.amdhsa_user_sgpr_dispatch_id 0
		.amdhsa_user_sgpr_private_segment_size 0
		.amdhsa_wavefront_size32 1
		.amdhsa_uses_dynamic_stack 0
		.amdhsa_enable_private_segment 0
		.amdhsa_system_sgpr_workgroup_id_x 1
		.amdhsa_system_sgpr_workgroup_id_y 0
		.amdhsa_system_sgpr_workgroup_id_z 0
		.amdhsa_system_sgpr_workgroup_info 0
		.amdhsa_system_vgpr_workitem_id 0
		.amdhsa_next_free_vgpr 212
		.amdhsa_next_free_sgpr 44
		.amdhsa_reserve_vcc 1
		.amdhsa_float_round_mode_32 0
		.amdhsa_float_round_mode_16_64 0
		.amdhsa_float_denorm_mode_32 3
		.amdhsa_float_denorm_mode_16_64 3
		.amdhsa_dx10_clamp 1
		.amdhsa_ieee_mode 1
		.amdhsa_fp16_overflow 0
		.amdhsa_workgroup_processor_mode 1
		.amdhsa_memory_ordered 1
		.amdhsa_forward_progress 0
		.amdhsa_shared_vgpr_count 0
		.amdhsa_exception_fp_ieee_invalid_op 0
		.amdhsa_exception_fp_denorm_src 0
		.amdhsa_exception_fp_ieee_div_zero 0
		.amdhsa_exception_fp_ieee_overflow 0
		.amdhsa_exception_fp_ieee_underflow 0
		.amdhsa_exception_fp_ieee_inexact 0
		.amdhsa_exception_int_div_zero 0
	.end_amdhsa_kernel
	.text
.Lfunc_end0:
	.size	fft_rtc_back_len1001_factors_13_7_11_wgs_182_tpt_91_halfLds_dp_op_CI_CI_sbrr_dirReg, .Lfunc_end0-fft_rtc_back_len1001_factors_13_7_11_wgs_182_tpt_91_halfLds_dp_op_CI_CI_sbrr_dirReg
                                        ; -- End function
	.section	.AMDGPU.csdata,"",@progbits
; Kernel info:
; codeLenInByte = 13784
; NumSgprs: 46
; NumVgprs: 212
; ScratchSize: 0
; MemoryBound: 1
; FloatMode: 240
; IeeeMode: 1
; LDSByteSize: 0 bytes/workgroup (compile time only)
; SGPRBlocks: 5
; VGPRBlocks: 26
; NumSGPRsForWavesPerEU: 46
; NumVGPRsForWavesPerEU: 212
; Occupancy: 7
; WaveLimiterHint : 1
; COMPUTE_PGM_RSRC2:SCRATCH_EN: 0
; COMPUTE_PGM_RSRC2:USER_SGPR: 15
; COMPUTE_PGM_RSRC2:TRAP_HANDLER: 0
; COMPUTE_PGM_RSRC2:TGID_X_EN: 1
; COMPUTE_PGM_RSRC2:TGID_Y_EN: 0
; COMPUTE_PGM_RSRC2:TGID_Z_EN: 0
; COMPUTE_PGM_RSRC2:TIDIG_COMP_CNT: 0
	.text
	.p2alignl 7, 3214868480
	.fill 96, 4, 3214868480
	.type	__hip_cuid_f257772d72f5a356,@object ; @__hip_cuid_f257772d72f5a356
	.section	.bss,"aw",@nobits
	.globl	__hip_cuid_f257772d72f5a356
__hip_cuid_f257772d72f5a356:
	.byte	0                               ; 0x0
	.size	__hip_cuid_f257772d72f5a356, 1

	.ident	"AMD clang version 19.0.0git (https://github.com/RadeonOpenCompute/llvm-project roc-6.4.0 25133 c7fe45cf4b819c5991fe208aaa96edf142730f1d)"
	.section	".note.GNU-stack","",@progbits
	.addrsig
	.addrsig_sym __hip_cuid_f257772d72f5a356
	.amdgpu_metadata
---
amdhsa.kernels:
  - .args:
      - .actual_access:  read_only
        .address_space:  global
        .offset:         0
        .size:           8
        .value_kind:     global_buffer
      - .offset:         8
        .size:           8
        .value_kind:     by_value
      - .actual_access:  read_only
        .address_space:  global
        .offset:         16
        .size:           8
        .value_kind:     global_buffer
      - .actual_access:  read_only
        .address_space:  global
        .offset:         24
        .size:           8
        .value_kind:     global_buffer
      - .actual_access:  read_only
        .address_space:  global
        .offset:         32
        .size:           8
        .value_kind:     global_buffer
      - .offset:         40
        .size:           8
        .value_kind:     by_value
      - .actual_access:  read_only
        .address_space:  global
        .offset:         48
        .size:           8
        .value_kind:     global_buffer
      - .actual_access:  read_only
        .address_space:  global
        .offset:         56
        .size:           8
        .value_kind:     global_buffer
      - .offset:         64
        .size:           4
        .value_kind:     by_value
      - .actual_access:  read_only
        .address_space:  global
        .offset:         72
        .size:           8
        .value_kind:     global_buffer
      - .actual_access:  read_only
        .address_space:  global
        .offset:         80
        .size:           8
        .value_kind:     global_buffer
      - .actual_access:  read_only
        .address_space:  global
        .offset:         88
        .size:           8
        .value_kind:     global_buffer
      - .actual_access:  write_only
        .address_space:  global
        .offset:         96
        .size:           8
        .value_kind:     global_buffer
    .group_segment_fixed_size: 0
    .kernarg_segment_align: 8
    .kernarg_segment_size: 104
    .language:       OpenCL C
    .language_version:
      - 2
      - 0
    .max_flat_workgroup_size: 182
    .name:           fft_rtc_back_len1001_factors_13_7_11_wgs_182_tpt_91_halfLds_dp_op_CI_CI_sbrr_dirReg
    .private_segment_fixed_size: 0
    .sgpr_count:     46
    .sgpr_spill_count: 0
    .symbol:         fft_rtc_back_len1001_factors_13_7_11_wgs_182_tpt_91_halfLds_dp_op_CI_CI_sbrr_dirReg.kd
    .uniform_work_group_size: 1
    .uses_dynamic_stack: false
    .vgpr_count:     212
    .vgpr_spill_count: 0
    .wavefront_size: 32
    .workgroup_processor_mode: 1
amdhsa.target:   amdgcn-amd-amdhsa--gfx1100
amdhsa.version:
  - 1
  - 2
...

	.end_amdgpu_metadata
